;; amdgpu-corpus repo=ROCm/rocFFT kind=compiled arch=gfx950 opt=O3
	.text
	.amdgcn_target "amdgcn-amd-amdhsa--gfx950"
	.amdhsa_code_object_version 6
	.protected	fft_rtc_fwd_len975_factors_13_5_3_5_wgs_117_tpt_39_halfLds_sp_op_CI_CI_sbrr_dirReg ; -- Begin function fft_rtc_fwd_len975_factors_13_5_3_5_wgs_117_tpt_39_halfLds_sp_op_CI_CI_sbrr_dirReg
	.globl	fft_rtc_fwd_len975_factors_13_5_3_5_wgs_117_tpt_39_halfLds_sp_op_CI_CI_sbrr_dirReg
	.p2align	8
	.type	fft_rtc_fwd_len975_factors_13_5_3_5_wgs_117_tpt_39_halfLds_sp_op_CI_CI_sbrr_dirReg,@function
fft_rtc_fwd_len975_factors_13_5_3_5_wgs_117_tpt_39_halfLds_sp_op_CI_CI_sbrr_dirReg: ; @fft_rtc_fwd_len975_factors_13_5_3_5_wgs_117_tpt_39_halfLds_sp_op_CI_CI_sbrr_dirReg
; %bb.0:
	s_load_dwordx4 s[12:15], s[0:1], 0x18
	s_load_dwordx4 s[8:11], s[0:1], 0x0
	;; [unrolled: 1-line block ×3, first 2 shown]
	v_mul_u32_u24_e32 v1, 0x691, v0
	v_lshrrev_b32_e32 v2, 16, v1
	s_waitcnt lgkmcnt(0)
	s_load_dwordx2 s[18:19], s[12:13], 0x0
	s_load_dwordx2 s[16:17], s[14:15], 0x0
	v_mad_u64_u32 v[58:59], s[2:3], s2, 3, v[2:3]
	v_mov_b32_e32 v6, 0
	v_mov_b32_e32 v59, v6
	v_cmp_lt_u64_e64 s[2:3], s[10:11], 2
	v_mov_b64_e32 v[60:61], 0
	s_and_b64 vcc, exec, s[2:3]
	v_mov_b64_e32 v[2:3], v[60:61]
	v_mov_b64_e32 v[4:5], v[58:59]
	s_cbranch_vccnz .LBB0_8
; %bb.1:
	s_load_dwordx2 s[2:3], s[0:1], 0x10
	s_add_u32 s20, s14, 8
	s_addc_u32 s21, s15, 0
	s_add_u32 s22, s12, 8
	s_addc_u32 s23, s13, 0
	s_waitcnt lgkmcnt(0)
	s_add_u32 s24, s2, 8
	v_mov_b64_e32 v[60:61], 0
	s_addc_u32 s25, s3, 0
	s_mov_b64 s[26:27], 1
	v_mov_b64_e32 v[2:3], v[60:61]
	v_mov_b64_e32 v[8:9], v[58:59]
.LBB0_2:                                ; =>This Inner Loop Header: Depth=1
	s_load_dwordx2 s[28:29], s[24:25], 0x0
                                        ; implicit-def: $vgpr4_vgpr5
	s_waitcnt lgkmcnt(0)
	v_or_b32_e32 v7, s29, v9
	v_cmp_ne_u64_e32 vcc, 0, v[6:7]
	s_and_saveexec_b64 s[2:3], vcc
	s_xor_b64 s[30:31], exec, s[2:3]
	s_cbranch_execz .LBB0_4
; %bb.3:                                ;   in Loop: Header=BB0_2 Depth=1
	v_cvt_f32_u32_e32 v1, s28
	v_cvt_f32_u32_e32 v4, s29
	s_sub_u32 s2, 0, s28
	s_subb_u32 s3, 0, s29
	v_fmac_f32_e32 v1, 0x4f800000, v4
	v_rcp_f32_e32 v1, v1
	s_nop 0
	v_mul_f32_e32 v1, 0x5f7ffffc, v1
	v_mul_f32_e32 v4, 0x2f800000, v1
	v_trunc_f32_e32 v4, v4
	v_fmac_f32_e32 v1, 0xcf800000, v4
	v_cvt_u32_f32_e32 v7, v4
	v_cvt_u32_f32_e32 v1, v1
	v_mul_lo_u32 v4, s2, v7
	v_mul_hi_u32 v10, s2, v1
	v_mul_lo_u32 v5, s3, v1
	v_add_u32_e32 v10, v10, v4
	v_mul_lo_u32 v12, s2, v1
	v_add_u32_e32 v13, v10, v5
	v_mul_hi_u32 v4, v1, v12
	v_mul_hi_u32 v11, v1, v13
	v_mul_lo_u32 v10, v1, v13
	v_mov_b32_e32 v5, v6
	v_lshl_add_u64 v[4:5], v[4:5], 0, v[10:11]
	v_mul_hi_u32 v11, v7, v12
	v_mul_lo_u32 v12, v7, v12
	v_add_co_u32_e32 v4, vcc, v4, v12
	v_mul_hi_u32 v10, v7, v13
	s_nop 0
	v_addc_co_u32_e32 v4, vcc, v5, v11, vcc
	v_mov_b32_e32 v5, v6
	s_nop 0
	v_addc_co_u32_e32 v11, vcc, 0, v10, vcc
	v_mul_lo_u32 v10, v7, v13
	v_lshl_add_u64 v[4:5], v[4:5], 0, v[10:11]
	v_add_co_u32_e32 v1, vcc, v1, v4
	v_mul_lo_u32 v10, s2, v1
	s_nop 0
	v_addc_co_u32_e32 v7, vcc, v7, v5, vcc
	v_mul_lo_u32 v4, s2, v7
	v_mul_hi_u32 v5, s2, v1
	v_add_u32_e32 v4, v5, v4
	v_mul_lo_u32 v5, s3, v1
	v_add_u32_e32 v12, v4, v5
	v_mul_hi_u32 v14, v7, v10
	v_mul_lo_u32 v15, v7, v10
	v_mul_hi_u32 v5, v1, v12
	v_mul_lo_u32 v4, v1, v12
	v_mul_hi_u32 v10, v1, v10
	v_mov_b32_e32 v11, v6
	v_lshl_add_u64 v[4:5], v[10:11], 0, v[4:5]
	v_add_co_u32_e32 v4, vcc, v4, v15
	v_mul_hi_u32 v13, v7, v12
	s_nop 0
	v_addc_co_u32_e32 v4, vcc, v5, v14, vcc
	v_mul_lo_u32 v10, v7, v12
	s_nop 0
	v_addc_co_u32_e32 v11, vcc, 0, v13, vcc
	v_mov_b32_e32 v5, v6
	v_lshl_add_u64 v[4:5], v[4:5], 0, v[10:11]
	v_add_co_u32_e32 v1, vcc, v1, v4
	v_mul_hi_u32 v10, v8, v1
	s_nop 0
	v_addc_co_u32_e32 v7, vcc, v7, v5, vcc
	v_mad_u64_u32 v[4:5], s[2:3], v8, v7, 0
	v_mov_b32_e32 v11, v6
	v_lshl_add_u64 v[4:5], v[10:11], 0, v[4:5]
	v_mad_u64_u32 v[12:13], s[2:3], v9, v1, 0
	v_add_co_u32_e32 v1, vcc, v4, v12
	v_mad_u64_u32 v[10:11], s[2:3], v9, v7, 0
	s_nop 0
	v_addc_co_u32_e32 v4, vcc, v5, v13, vcc
	v_mov_b32_e32 v5, v6
	s_nop 0
	v_addc_co_u32_e32 v11, vcc, 0, v11, vcc
	v_lshl_add_u64 v[4:5], v[4:5], 0, v[10:11]
	v_mul_lo_u32 v1, s29, v4
	v_mul_lo_u32 v7, s28, v5
	v_mad_u64_u32 v[10:11], s[2:3], s28, v4, 0
	v_add3_u32 v1, v11, v7, v1
	v_sub_u32_e32 v7, v9, v1
	v_mov_b32_e32 v11, s29
	v_sub_co_u32_e32 v14, vcc, v8, v10
	v_lshl_add_u64 v[12:13], v[4:5], 0, 1
	s_nop 0
	v_subb_co_u32_e64 v7, s[2:3], v7, v11, vcc
	v_subrev_co_u32_e64 v10, s[2:3], s28, v14
	v_subb_co_u32_e32 v1, vcc, v9, v1, vcc
	s_nop 0
	v_subbrev_co_u32_e64 v7, s[2:3], 0, v7, s[2:3]
	v_cmp_le_u32_e64 s[2:3], s29, v7
	v_cmp_le_u32_e32 vcc, s29, v1
	s_nop 0
	v_cndmask_b32_e64 v11, 0, -1, s[2:3]
	v_cmp_le_u32_e64 s[2:3], s28, v10
	s_nop 1
	v_cndmask_b32_e64 v10, 0, -1, s[2:3]
	v_cmp_eq_u32_e64 s[2:3], s29, v7
	s_nop 1
	v_cndmask_b32_e64 v7, v11, v10, s[2:3]
	v_lshl_add_u64 v[10:11], v[4:5], 0, 2
	v_cmp_ne_u32_e64 s[2:3], 0, v7
	s_nop 1
	v_cndmask_b32_e64 v7, v13, v11, s[2:3]
	v_cndmask_b32_e64 v11, 0, -1, vcc
	v_cmp_le_u32_e32 vcc, s28, v14
	s_nop 1
	v_cndmask_b32_e64 v13, 0, -1, vcc
	v_cmp_eq_u32_e32 vcc, s29, v1
	s_nop 1
	v_cndmask_b32_e32 v1, v11, v13, vcc
	v_cmp_ne_u32_e32 vcc, 0, v1
	v_cndmask_b32_e64 v1, v12, v10, s[2:3]
	s_nop 0
	v_cndmask_b32_e32 v5, v5, v7, vcc
	v_cndmask_b32_e32 v4, v4, v1, vcc
.LBB0_4:                                ;   in Loop: Header=BB0_2 Depth=1
	s_andn2_saveexec_b64 s[2:3], s[30:31]
	s_cbranch_execz .LBB0_6
; %bb.5:                                ;   in Loop: Header=BB0_2 Depth=1
	v_cvt_f32_u32_e32 v1, s28
	s_sub_i32 s30, 0, s28
	v_rcp_iflag_f32_e32 v1, v1
	s_nop 0
	v_mul_f32_e32 v1, 0x4f7ffffe, v1
	v_cvt_u32_f32_e32 v1, v1
	v_mul_lo_u32 v4, s30, v1
	v_mul_hi_u32 v4, v1, v4
	v_add_u32_e32 v1, v1, v4
	v_mul_hi_u32 v1, v8, v1
	v_mul_lo_u32 v4, v1, s28
	v_sub_u32_e32 v4, v8, v4
	v_add_u32_e32 v5, 1, v1
	v_subrev_u32_e32 v7, s28, v4
	v_cmp_le_u32_e32 vcc, s28, v4
	s_nop 1
	v_cndmask_b32_e32 v4, v4, v7, vcc
	v_cndmask_b32_e32 v1, v1, v5, vcc
	v_add_u32_e32 v5, 1, v1
	v_cmp_le_u32_e32 vcc, s28, v4
	s_nop 1
	v_cndmask_b32_e32 v4, v1, v5, vcc
	v_mov_b32_e32 v5, v6
.LBB0_6:                                ;   in Loop: Header=BB0_2 Depth=1
	s_or_b64 exec, exec, s[2:3]
	v_mad_u64_u32 v[10:11], s[2:3], v4, s28, 0
	s_load_dwordx2 s[2:3], s[22:23], 0x0
	v_mul_lo_u32 v1, v5, s28
	v_mul_lo_u32 v7, v4, s29
	s_load_dwordx2 s[28:29], s[20:21], 0x0
	s_add_u32 s26, s26, 1
	v_add3_u32 v1, v11, v7, v1
	v_sub_co_u32_e32 v7, vcc, v8, v10
	s_addc_u32 s27, s27, 0
	s_nop 0
	v_subb_co_u32_e32 v1, vcc, v9, v1, vcc
	s_add_u32 s20, s20, 8
	s_waitcnt lgkmcnt(0)
	v_mul_lo_u32 v8, s2, v1
	v_mul_lo_u32 v9, s3, v7
	v_mad_u64_u32 v[60:61], s[2:3], s2, v7, v[60:61]
	s_addc_u32 s21, s21, 0
	v_add3_u32 v61, v9, v61, v8
	v_mul_lo_u32 v1, s28, v1
	v_mul_lo_u32 v8, s29, v7
	v_mad_u64_u32 v[2:3], s[2:3], s28, v7, v[2:3]
	s_add_u32 s22, s22, 8
	v_add3_u32 v3, v8, v3, v1
	s_addc_u32 s23, s23, 0
	v_mov_b64_e32 v[8:9], s[10:11]
	s_add_u32 s24, s24, 8
	v_cmp_ge_u64_e32 vcc, s[26:27], v[8:9]
	s_addc_u32 s25, s25, 0
	s_cbranch_vccnz .LBB0_8
; %bb.7:                                ;   in Loop: Header=BB0_2 Depth=1
	v_mov_b64_e32 v[8:9], v[4:5]
	s_branch .LBB0_2
.LBB0_8:
	s_load_dwordx2 s[0:1], s[0:1], 0x28
	s_lshl_b64 s[20:21], s[10:11], 3
	s_add_u32 s10, s14, s20
	s_addc_u32 s11, s15, s21
                                        ; implicit-def: $sgpr14
                                        ; implicit-def: $vgpr98
	s_waitcnt lgkmcnt(0)
	v_cmp_gt_u64_e32 vcc, s[0:1], v[4:5]
	v_cmp_le_u64_e64 s[0:1], s[0:1], v[4:5]
	s_and_saveexec_b64 s[2:3], s[0:1]
	s_xor_b64 s[0:1], exec, s[2:3]
; %bb.9:
	s_mov_b32 s2, 0x6906907
	v_mul_hi_u32 v1, v0, s2
	v_mul_u32_u24_e32 v1, 39, v1
	v_sub_u32_e32 v98, v0, v1
	s_mov_b32 s14, 0
                                        ; implicit-def: $vgpr0
                                        ; implicit-def: $vgpr60_vgpr61
; %bb.10:
	s_or_saveexec_b64 s[2:3], s[0:1]
	s_load_dwordx2 s[10:11], s[10:11], 0x0
	v_mov_b32_e32 v1, s14
	v_mov_b32_e32 v53, s14
                                        ; implicit-def: $vgpr18
                                        ; implicit-def: $vgpr30
                                        ; implicit-def: $vgpr44
                                        ; implicit-def: $vgpr56
                                        ; implicit-def: $vgpr42
                                        ; implicit-def: $vgpr36
                                        ; implicit-def: $vgpr46
                                        ; implicit-def: $vgpr48
                                        ; implicit-def: $vgpr54
                                        ; implicit-def: $vgpr59
                                        ; implicit-def: $vgpr50
                                        ; implicit-def: $vgpr32
                                        ; implicit-def: $vgpr20
                                        ; implicit-def: $vgpr24
                                        ; implicit-def: $vgpr22
                                        ; implicit-def: $vgpr26
                                        ; implicit-def: $vgpr8
                                        ; implicit-def: $vgpr10
                                        ; implicit-def: $vgpr12
                                        ; implicit-def: $vgpr14
                                        ; implicit-def: $vgpr16
                                        ; implicit-def: $vgpr6
                                        ; implicit-def: $vgpr40
                                        ; implicit-def: $vgpr34
                                        ; implicit-def: $vgpr38
                                        ; implicit-def: $vgpr28
	s_xor_b64 exec, exec, s[2:3]
	s_cbranch_execz .LBB0_14
; %bb.11:
	s_add_u32 s0, s12, s20
	s_addc_u32 s1, s13, s21
	s_load_dwordx2 s[0:1], s[0:1], 0x0
	s_mov_b32 s12, 0x6906907
	v_mov_b32_e32 v53, 0
                                        ; implicit-def: $vgpr17
                                        ; implicit-def: $vgpr27
                                        ; implicit-def: $vgpr23
                                        ; implicit-def: $vgpr25
                                        ; implicit-def: $vgpr21
                                        ; implicit-def: $vgpr45
                                        ; implicit-def: $vgpr30
                                        ; implicit-def: $vgpr18
	s_waitcnt lgkmcnt(0)
	v_mul_lo_u32 v1, s1, v4
	v_mul_lo_u32 v8, s0, v5
	v_mad_u64_u32 v[6:7], s[0:1], s0, v4, 0
	v_add3_u32 v7, v7, v8, v1
	v_mul_hi_u32 v1, v0, s12
	v_mul_u32_u24_e32 v1, 39, v1
	v_sub_u32_e32 v98, v0, v1
	v_mad_u64_u32 v[0:1], s[0:1], s18, v98, 0
	v_mov_b32_e32 v8, v1
	v_mad_u64_u32 v[8:9], s[0:1], s19, v98, v[8:9]
	v_lshl_add_u64 v[6:7], v[6:7], 3, s[4:5]
	v_add_u32_e32 v9, 0x4b, v98
	v_lshl_add_u64 v[56:57], v[60:61], 3, v[6:7]
	v_mad_u64_u32 v[6:7], s[0:1], s18, v9, 0
	v_mov_b32_e32 v1, v8
	v_mov_b32_e32 v8, v7
	v_mad_u64_u32 v[8:9], s[0:1], s19, v9, v[8:9]
	v_mov_b32_e32 v7, v8
	v_add_u32_e32 v11, 0x96, v98
	v_lshl_add_u64 v[8:9], v[6:7], 3, v[56:57]
	v_mad_u64_u32 v[6:7], s[0:1], s18, v11, 0
	v_mov_b32_e32 v10, v7
	v_mad_u64_u32 v[10:11], s[0:1], s19, v11, v[10:11]
	v_mov_b32_e32 v7, v10
	v_add_u32_e32 v13, 0xe1, v98
	v_lshl_add_u64 v[10:11], v[6:7], 3, v[56:57]
	v_mad_u64_u32 v[6:7], s[0:1], s18, v13, 0
	v_mov_b32_e32 v12, v7
	v_mad_u64_u32 v[12:13], s[0:1], s19, v13, v[12:13]
	v_lshl_add_u64 v[0:1], v[0:1], 3, v[56:57]
	v_mov_b32_e32 v7, v12
	v_lshl_add_u64 v[12:13], v[6:7], 3, v[56:57]
	global_load_dwordx2 v[6:7], v[0:1], off
	global_load_dwordx2 v[60:61], v[8:9], off
	;; [unrolled: 1-line block ×4, first 2 shown]
	v_add_u32_e32 v9, 0x12c, v98
	v_mad_u64_u32 v[0:1], s[0:1], s18, v9, 0
	v_mov_b32_e32 v8, v1
	v_mad_u64_u32 v[8:9], s[0:1], s19, v9, v[8:9]
	v_add_u32_e32 v11, 0x177, v98
	v_mov_b32_e32 v1, v8
	v_mad_u64_u32 v[8:9], s[0:1], s18, v11, 0
	v_mov_b32_e32 v10, v9
	v_mad_u64_u32 v[10:11], s[0:1], s19, v11, v[10:11]
	v_add_u32_e32 v13, 0x1c2, v98
	v_mov_b32_e32 v9, v10
	;; [unrolled: 5-line block ×3, first 2 shown]
	v_mad_u64_u32 v[12:13], s[0:1], s18, v15, 0
	v_mov_b32_e32 v14, v13
	v_mad_u64_u32 v[14:15], s[0:1], s19, v15, v[14:15]
	v_lshl_add_u64 v[0:1], v[0:1], 3, v[56:57]
	v_lshl_add_u64 v[8:9], v[8:9], 3, v[56:57]
	v_mov_b32_e32 v13, v14
	v_lshl_add_u64 v[10:11], v[10:11], 3, v[56:57]
	v_lshl_add_u64 v[12:13], v[12:13], 3, v[56:57]
	global_load_dwordx2 v[42:43], v[0:1], off
	global_load_dwordx2 v[38:39], v[8:9], off
	;; [unrolled: 1-line block ×4, first 2 shown]
	v_add_u32_e32 v9, 0x258, v98
	v_mad_u64_u32 v[0:1], s[0:1], s18, v9, 0
	v_mov_b32_e32 v8, v1
	v_mad_u64_u32 v[8:9], s[0:1], s19, v9, v[8:9]
	v_add_u32_e32 v11, 0x2a3, v98
	v_mov_b32_e32 v1, v8
	v_mad_u64_u32 v[8:9], s[0:1], s18, v11, 0
	v_mov_b32_e32 v10, v9
	v_mad_u64_u32 v[10:11], s[0:1], s19, v11, v[10:11]
	v_add_u32_e32 v13, 0x2ee, v98
	v_mov_b32_e32 v9, v10
	;; [unrolled: 5-line block ×3, first 2 shown]
	v_mad_u64_u32 v[12:13], s[0:1], s18, v15, 0
	v_mov_b32_e32 v14, v13
	v_mad_u64_u32 v[14:15], s[0:1], s19, v15, v[14:15]
	v_lshl_add_u64 v[0:1], v[0:1], 3, v[56:57]
	v_lshl_add_u64 v[8:9], v[8:9], 3, v[56:57]
	v_mov_b32_e32 v13, v14
	v_lshl_add_u64 v[10:11], v[10:11], 3, v[56:57]
	v_lshl_add_u64 v[12:13], v[12:13], 3, v[56:57]
	global_load_dwordx2 v[50:51], v[0:1], off
	global_load_dwordx2 v[54:55], v[8:9], off
	global_load_dwordx2 v[48:49], v[10:11], off
	global_load_dwordx2 v[46:47], v[12:13], off
	v_add_u32_e32 v9, 0x384, v98
	v_mad_u64_u32 v[0:1], s[0:1], s18, v9, 0
	v_mov_b32_e32 v8, v1
	v_mad_u64_u32 v[8:9], s[0:1], s19, v9, v[8:9]
	v_mov_b32_e32 v1, v8
	v_lshl_add_u64 v[0:1], v[0:1], 3, v[56:57]
	global_load_dwordx2 v[36:37], v[0:1], off
	v_cmp_gt_u32_e64 s[0:1], 36, v98
	v_mov_b32_e32 v1, 0
                                        ; implicit-def: $vgpr15
                                        ; implicit-def: $vgpr13
                                        ; implicit-def: $vgpr11
                                        ; implicit-def: $vgpr9
	s_and_saveexec_b64 s[4:5], s[0:1]
	s_cbranch_execz .LBB0_13
; %bb.12:
	v_add_u32_e32 v9, 39, v98
	v_mad_u64_u32 v[0:1], s[0:1], s18, v9, 0
	v_mov_b32_e32 v8, v1
	v_mad_u64_u32 v[8:9], s[0:1], s19, v9, v[8:9]
	v_mov_b32_e32 v1, v8
	v_add_u32_e32 v11, 0x72, v98
	v_lshl_add_u64 v[8:9], v[0:1], 3, v[56:57]
	v_mad_u64_u32 v[0:1], s[0:1], s18, v11, 0
	v_mov_b32_e32 v10, v1
	v_mad_u64_u32 v[10:11], s[0:1], s19, v11, v[10:11]
	v_mov_b32_e32 v1, v10
	v_add_u32_e32 v13, 0xbd, v98
	v_lshl_add_u64 v[10:11], v[0:1], 3, v[56:57]
	;; [unrolled: 6-line block ×3, first 2 shown]
	v_mad_u64_u32 v[0:1], s[0:1], s18, v15, 0
	v_mov_b32_e32 v14, v1
	v_mad_u64_u32 v[14:15], s[0:1], s19, v15, v[14:15]
	v_mov_b32_e32 v1, v14
	v_lshl_add_u64 v[14:15], v[0:1], 3, v[56:57]
	global_load_dwordx2 v[0:1], v[8:9], off
	global_load_dwordx2 v[20:21], v[10:11], off
	;; [unrolled: 1-line block ×4, first 2 shown]
	v_add_u32_e32 v11, 0x153, v98
	v_mad_u64_u32 v[8:9], s[0:1], s18, v11, 0
	v_mov_b32_e32 v10, v9
	v_mad_u64_u32 v[10:11], s[0:1], s19, v11, v[10:11]
	v_mov_b32_e32 v9, v10
	v_add_u32_e32 v13, 0x19e, v98
	v_lshl_add_u64 v[10:11], v[8:9], 3, v[56:57]
	v_mad_u64_u32 v[8:9], s[0:1], s18, v13, 0
	v_mov_b32_e32 v12, v9
	v_mad_u64_u32 v[12:13], s[0:1], s19, v13, v[12:13]
	v_mov_b32_e32 v9, v12
	v_add_u32_e32 v15, 0x1e9, v98
	v_lshl_add_u64 v[12:13], v[8:9], 3, v[56:57]
	;; [unrolled: 6-line block ×3, first 2 shown]
	v_mad_u64_u32 v[8:9], s[0:1], s18, v17, 0
	v_mov_b32_e32 v16, v9
	v_mad_u64_u32 v[16:17], s[0:1], s19, v17, v[16:17]
	v_mov_b32_e32 v9, v16
	v_lshl_add_u64 v[16:17], v[8:9], 3, v[56:57]
	global_load_dwordx2 v[18:19], v[10:11], off
	global_load_dwordx2 v[26:27], v[12:13], off
	;; [unrolled: 1-line block ×4, first 2 shown]
	v_add_u32_e32 v13, 0x27f, v98
	v_mad_u64_u32 v[10:11], s[0:1], s18, v13, 0
	v_mov_b32_e32 v12, v11
	v_mad_u64_u32 v[12:13], s[0:1], s19, v13, v[12:13]
	v_mov_b32_e32 v11, v12
	v_add_u32_e32 v13, 0x2ca, v98
	v_lshl_add_u64 v[52:53], v[10:11], 3, v[56:57]
	v_mad_u64_u32 v[10:11], s[0:1], s18, v13, 0
	v_mov_b32_e32 v12, v11
	v_mad_u64_u32 v[12:13], s[0:1], s19, v13, v[12:13]
	v_mov_b32_e32 v11, v12
	v_add_u32_e32 v13, 0x315, v98
	v_lshl_add_u64 v[62:63], v[10:11], 3, v[56:57]
	;; [unrolled: 6-line block ×4, first 2 shown]
	v_mad_u64_u32 v[10:11], s[0:1], s18, v13, 0
	v_mov_b32_e32 v12, v11
	v_mad_u64_u32 v[12:13], s[0:1], s19, v13, v[12:13]
	v_mov_b32_e32 v11, v12
	v_lshl_add_u64 v[56:57], v[10:11], 3, v[56:57]
	global_load_dwordx2 v[30:31], v[56:57], off
	global_load_dwordx2 v[16:17], v[52:53], off
	;; [unrolled: 1-line block ×5, first 2 shown]
	s_waitcnt vmcnt(12)
	v_mov_b32_e32 v53, v0
	s_waitcnt vmcnt(5)
	v_mov_b32_e32 v52, v44
	v_mov_b32_e32 v0, v45
	;; [unrolled: 1-line block ×3, first 2 shown]
	s_waitcnt vmcnt(4)
	v_mov_b32_e32 v45, v31
.LBB0_13:
	s_or_b64 exec, exec, s[4:5]
	s_waitcnt vmcnt(8)
	v_mov_b32_e32 v56, v43
	v_mov_b32_e32 v57, v61
	;; [unrolled: 1-line block ×3, first 2 shown]
	s_waitcnt vmcnt(3)
	v_mov_b32_e32 v59, v55
.LBB0_14:
	s_or_b64 exec, exec, s[2:3]
	v_add_f32_e32 v31, v6, v43
	v_add_f32_e32 v31, v31, v40
	s_mov_b32 s0, 0xaaaaaaab
	v_add_f32_e32 v60, v31, v34
	s_mov_b32 s2, 0xbf3f9e67
	s_mov_b32 s12, 0xbeb58ec6
	s_waitcnt vmcnt(0)
	v_mov_b32_e32 v61, v36
	v_mul_hi_u32 v19, v58, s0
	s_mov_b32 s4, 0x3df6dbef
	s_mov_b32 s3, 0xbf29c268
	;; [unrolled: 1-line block ×3, first 2 shown]
	v_pk_add_f32 v[60:61], v[60:61], v[42:43]
	s_mov_b32 s28, s12
	s_mov_b32 s29, s2
	v_lshrrev_b32_e32 v19, 1, v19
	s_mov_b32 s14, 0x3f29c268
	s_mov_b32 s5, 0xbf7e222b
	;; [unrolled: 1-line block ×7, first 2 shown]
	v_pk_add_f32 v[62:63], v[56:57], v[36:37] neg_lo:[0,1] neg_hi:[0,1]
	v_pk_mul_f32 v[64:65], v[60:61], s[28:29] op_sel:[1,0]
	v_pk_add_f32 v[74:75], v[46:47], v[40:41]
	v_lshl_add_u32 v19, v19, 1, v19
	s_mov_b32 s15, 0x3eedf032
	s_mov_b32 s26, s14
	;; [unrolled: 1-line block ×3, first 2 shown]
	v_pk_fma_f32 v[66:67], v[62:63], s[24:25], v[64:65] op_sel:[1,0,0]
	v_pk_add_f32 v[78:79], v[40:41], v[46:47] neg_lo:[0,1] neg_hi:[0,1]
	v_pk_mul_f32 v[68:69], v[74:75], s[20:21] op_sel_hi:[0,1]
	s_mov_b32 s30, 0x3f116cb1
	s_mov_b32 s45, 0x3f62ad3f
	v_sub_u32_e32 v19, v58, v19
	v_pk_add_f32 v[66:67], v[66:67], v[6:7] op_sel_hi:[1,0]
	v_pk_fma_f32 v[70:71], v[78:79], s[26:27], v[68:69] op_sel:[1,0,0]
	s_mov_b32 s31, 0xbf52af12
	s_mov_b32 s34, s45
	s_mov_b32 s35, s30
	v_pk_add_f32 v[76:77], v[48:49], v[34:35]
	s_mov_b32 s22, 0xbf788fa5
	v_mov_b32_e32 v55, v56
	v_mov_b32_e32 v58, v42
	v_pk_add_f32 v[66:67], v[66:67], v[70:71]
	s_mov_b32 s40, s15
	s_mov_b32 s41, s31
	v_pk_add_f32 v[82:83], v[34:35], v[48:49] neg_lo:[0,1] neg_hi:[0,1]
	v_pk_mul_f32 v[70:71], v[76:77], s[34:35] op_sel_hi:[0,1]
	s_mov_b32 s23, 0xbe750f2a
	s_mov_b32 s36, s4
	;; [unrolled: 1-line block ×3, first 2 shown]
	v_pk_add_f32 v[90:91], v[54:55], v[58:59]
	v_pk_fma_f32 v[72:73], v[82:83], s[40:41], v[70:71] op_sel:[1,0,0]
	s_mov_b32 s47, 0x3e750f2a
	s_mov_b32 s46, s5
	v_pk_add_f32 v[92:93], v[54:55], v[58:59] neg_lo:[0,1] neg_hi:[0,1]
	v_pk_mul_f32 v[94:95], v[90:91], s[36:37] op_sel_hi:[0,1]
	s_mov_b32 s38, s22
	s_mov_b32 s39, s45
	v_pk_add_f32 v[80:81], v[50:51], v[38:39]
	v_pk_add_f32 v[66:67], v[66:67], v[72:73]
	v_pk_fma_f32 v[72:73], v[92:93], s[46:47], v[94:95] op_sel:[1,0,0]
	s_mov_b32 s48, s47
	s_mov_b32 s49, s15
	v_pk_add_f32 v[88:89], v[38:39], v[50:51] neg_lo:[0,1] neg_hi:[0,1]
	v_pk_mul_f32 v[96:97], v[80:81], s[38:39] op_sel_hi:[0,1]
	s_mov_b32 s42, s30
	s_mov_b32 s43, s12
	v_pk_add_f32 v[84:85], v[32:33], v[28:29]
	v_pk_add_f32 v[66:67], v[66:67], v[72:73]
	v_pk_fma_f32 v[72:73], v[88:89], s[48:49], v[96:97] op_sel:[1,0,0]
	s_mov_b32 s50, 0x3f52af12
	s_mov_b32 s51, s13
	v_pk_add_f32 v[86:87], v[28:29], v[32:33] neg_lo:[0,1] neg_hi:[0,1]
	v_pk_mul_f32 v[102:103], v[84:85], s[42:43] op_sel_hi:[0,1]
	v_pk_add_f32 v[66:67], v[66:67], v[72:73]
	v_pk_fma_f32 v[72:73], v[86:87], s[50:51], v[102:103] op_sel:[1,0,0]
	v_mul_u32_u24_e32 v34, 0x3cf, v19
	v_mad_u32_u24 v19, v98, 52, 0
	v_pk_add_f32 v[66:67], v[66:67], v[72:73]
	v_lshl_add_u32 v100, v34, 2, v19
	s_mov_b32 s54, s30
	s_mov_b32 s55, s4
	ds_write2_b32 v100, v67, v66 offset0:8 offset1:9
	s_mov_b32 s56, s31
	s_mov_b32 s57, s5
	;; [unrolled: 1-line block ×4, first 2 shown]
	v_pk_mul_f32 v[66:67], v[60:61], s[54:55] op_sel:[1,0]
	s_mov_b32 s60, s13
	s_mov_b32 s61, s23
	v_pk_fma_f32 v[72:73], v[62:63], s[56:57], v[66:67] op_sel:[1,0,0]
	v_pk_mul_f32 v[104:105], v[74:75], s[52:53] op_sel_hi:[0,1]
	v_pk_add_f32 v[72:73], v[72:73], v[6:7] op_sel_hi:[1,0]
	v_pk_fma_f32 v[106:107], v[78:79], s[60:61], v[104:105] op_sel:[1,0,0]
	s_mov_b32 s58, s22
	s_mov_b32 s59, s12
	v_pk_add_f32 v[72:73], v[72:73], v[106:107]
	s_mov_b32 s67, 0x3f6f5d39
	s_mov_b32 s66, s23
	v_pk_mul_f32 v[106:107], v[76:77], s[58:59] op_sel_hi:[0,1]
	v_pk_fma_f32 v[108:109], v[82:83], s[66:67], v[106:107] op_sel:[1,0,0]
	s_mov_b32 s44, s2
	v_pk_add_f32 v[72:73], v[72:73], v[108:109]
	v_pk_mul_f32 v[108:109], v[90:91], s[44:45] op_sel_hi:[0,1]
	v_pk_fma_f32 v[110:111], v[92:93], s[14:15], v[108:109] op_sel:[1,0,0]
	s_mov_b32 s62, s4
	s_mov_b32 s63, s30
	v_pk_add_f32 v[72:73], v[72:73], v[110:111]
	s_mov_b32 s19, s31
	v_pk_mul_f32 v[110:111], v[80:81], s[62:63] op_sel_hi:[0,1]
	v_pk_fma_f32 v[112:113], v[88:89], s[18:19], v[110:111] op_sel:[1,0,0]
	s_mov_b32 s64, s45
	s_mov_b32 s65, s2
	v_pk_add_f32 v[72:73], v[72:73], v[112:113]
	s_mov_b32 s68, s15
	s_mov_b32 s69, s3
	v_pk_mul_f32 v[112:113], v[84:85], s[64:65] op_sel_hi:[0,1]
	v_pk_fma_f32 v[114:115], v[86:87], s[68:69], v[112:113] op_sel:[1,0,0]
	v_pk_fma_f32 v[66:67], v[62:63], s[56:57], v[66:67] op_sel:[1,0,0] neg_lo:[1,0,0] neg_hi:[1,0,0]
	v_pk_add_f32 v[72:73], v[72:73], v[114:115]
	ds_write2_b32 v100, v73, v72 offset0:10 offset1:11
	v_mov_b32_e32 v72, v74
	v_mov_b32_e32 v73, v79
	v_pk_mul_f32 v[114:115], v[72:73], s[30:31]
	v_pk_fma_f32 v[104:105], v[78:79], s[60:61], v[104:105] op_sel:[1,0,0] neg_lo:[1,0,0] neg_hi:[1,0,0]
	v_mov_b32_e32 v19, v114
	v_pk_fma_f32 v[116:117], v[72:73], s[30:31], v[18:19] neg_lo:[1,0,0] neg_hi:[1,0,0]
	v_mov_b32_e32 v72, v76
	v_mov_b32_e32 v73, v83
	v_pk_mul_f32 v[118:119], v[72:73], s[4:5]
	v_pk_add_f32 v[66:67], v[66:67], v[6:7] op_sel_hi:[1,0]
	v_mov_b32_e32 v19, v118
	v_pk_fma_f32 v[120:121], v[72:73], s[4:5], v[18:19] neg_lo:[1,0,0] neg_hi:[1,0,0]
	v_mov_b32_e32 v72, v90
	v_mov_b32_e32 v73, v93
	v_pk_mul_f32 v[122:123], v[72:73], s[12:13]
	v_pk_add_f32 v[66:67], v[66:67], v[104:105]
	v_pk_fma_f32 v[104:105], v[82:83], s[66:67], v[106:107] op_sel:[1,0,0] neg_lo:[1,0,0] neg_hi:[1,0,0]
	v_mov_b32_e32 v19, v122
	v_pk_add_f32 v[66:67], v[66:67], v[104:105]
	v_pk_fma_f32 v[104:105], v[92:93], s[14:15], v[108:109] op_sel:[1,0,0] neg_lo:[1,0,0] neg_hi:[1,0,0]
	v_pk_fma_f32 v[124:125], v[72:73], s[12:13], v[18:19] neg_lo:[1,0,0] neg_hi:[1,0,0]
	v_mov_b32_e32 v72, v80
	v_mov_b32_e32 v73, v89
	v_pk_add_f32 v[66:67], v[66:67], v[104:105]
	v_pk_fma_f32 v[104:105], v[88:89], s[18:19], v[110:111] op_sel:[1,0,0] neg_lo:[1,0,0] neg_hi:[1,0,0]
	v_pk_mul_f32 v[126:127], v[72:73], s[2:3]
	v_pk_add_f32 v[66:67], v[66:67], v[104:105]
	v_pk_fma_f32 v[104:105], v[86:87], s[68:69], v[112:113] op_sel:[1,0,0] neg_lo:[1,0,0] neg_hi:[1,0,0]
	v_mov_b32_e32 v19, v126
	v_pk_add_f32 v[66:67], v[66:67], v[104:105]
	v_pk_fma_f32 v[64:65], v[62:63], s[24:25], v[64:65] op_sel:[1,0,0] neg_lo:[1,0,0] neg_hi:[1,0,0]
	v_pk_fma_f32 v[128:129], v[72:73], s[2:3], v[18:19] neg_lo:[1,0,0] neg_hi:[1,0,0]
	v_mov_b32_e32 v72, v84
	v_mov_b32_e32 v73, v87
	ds_write2_b32 v100, v66, v67 offset0:2 offset1:3
	v_pk_fma_f32 v[66:67], v[78:79], s[26:27], v[68:69] op_sel:[1,0,0] neg_lo:[1,0,0] neg_hi:[1,0,0]
	v_pk_add_f32 v[64:65], v[64:65], v[6:7] op_sel_hi:[1,0]
	v_pk_mul_f32 v[130:131], v[72:73], s[22:23]
	v_pk_add_f32 v[64:65], v[64:65], v[66:67]
	v_pk_fma_f32 v[66:67], v[82:83], s[40:41], v[70:71] op_sel:[1,0,0] neg_lo:[1,0,0] neg_hi:[1,0,0]
	v_mov_b32_e32 v19, v130
	v_pk_add_f32 v[64:65], v[64:65], v[66:67]
	v_pk_fma_f32 v[66:67], v[92:93], s[46:47], v[94:95] op_sel:[1,0,0] neg_lo:[1,0,0] neg_hi:[1,0,0]
	v_pk_fma_f32 v[132:133], v[72:73], s[22:23], v[18:19] neg_lo:[1,0,0] neg_hi:[1,0,0]
	v_mov_b32_e32 v73, 0x3f62ad3f
	v_mov_b32_e32 v72, v38
	v_mul_f32_e32 v135, 0xbeedf032, v63
	v_mov_b32_e32 v134, v28
	v_pk_add_f32 v[64:65], v[64:65], v[66:67]
	v_pk_fma_f32 v[66:67], v[88:89], s[48:49], v[96:97] op_sel:[1,0,0] neg_lo:[1,0,0] neg_hi:[1,0,0]
	v_pk_add_f32 v[136:137], v[60:61], v[38:39]
	v_pk_fma_f32 v[134:135], v[60:61], v[72:73], v[134:135] neg_lo:[0,0,1] neg_hi:[0,0,1]
	v_pk_add_f32 v[64:65], v[64:65], v[66:67]
	v_pk_fma_f32 v[66:67], v[86:87], s[50:51], v[102:103] op_sel:[1,0,0] neg_lo:[1,0,0] neg_hi:[1,0,0]
	v_pk_add_f32 v[136:137], v[136:137], v[28:29]
	v_mov_b32_e32 v134, v32
	v_pk_add_f32 v[64:65], v[64:65], v[66:67]
	v_mul_f32_e32 v28, 0x3f62ad3f, v74
	v_mul_f32_e32 v32, 0x3eedf032, v79
	ds_write2_b32 v100, v64, v65 offset0:4 offset1:5
	v_pk_add_f32 v[64:65], v[28:29], v[32:33] neg_lo:[0,1] neg_hi:[0,1]
	v_pk_add_f32 v[66:67], v[28:29], v[32:33]
	v_mul_f32_e32 v28, 0xbf3f9e67, v76
	v_mul_f32_e32 v32, 0xbf29c268, v83
	v_mov_b32_e32 v65, v66
	v_pk_add_f32 v[66:67], v[28:29], v[32:33] neg_lo:[0,1] neg_hi:[0,1]
	v_pk_add_f32 v[68:69], v[28:29], v[32:33]
	v_mul_f32_e32 v28, 0x3f116cb1, v90
	v_mul_f32_e32 v32, 0x3f52af12, v93
	v_mov_b32_e32 v67, v68
	;; [unrolled: 5-line block ×4, first 2 shown]
	v_pk_add_f32 v[90:91], v[28:29], v[32:33] neg_lo:[0,1] neg_hi:[0,1]
	v_pk_add_f32 v[92:93], v[28:29], v[32:33]
	v_pk_mul_f32 v[102:103], v[60:61], v[72:73]
	v_mul_f32_e32 v28, 0xbe750f2a, v63
	v_mul_f32_e32 v32, 0xbf788fa5, v61
	v_fmac_f32_e32 v103, 0xbeedf032, v63
	v_pk_add_f32 v[60:61], v[32:33], v[28:29] neg_lo:[0,1] neg_hi:[0,1]
	v_pk_add_f32 v[62:63], v[32:33], v[28:29]
	v_mov_b32_e32 v91, v92
	v_mov_b32_e32 v61, v62
	v_pk_add_f32 v[60:61], v[60:61], v[6:7] op_sel_hi:[1,0]
	v_add_f32_e32 v28, v20, v30
	v_pk_add_f32 v[60:61], v[60:61], v[64:65]
	v_mul_f32_e32 v19, 0x3f62ad3f, v28
	v_pk_add_f32 v[60:61], v[60:61], v[66:67]
	v_pk_add_f32 v[62:63], v[22:23], v[12:13]
	;; [unrolled: 1-line block ×3, first 2 shown]
	v_pk_add_f32 v[68:69], v[22:23], v[12:13] neg_lo:[0,1] neg_hi:[0,1]
	v_pk_add_f32 v[60:61], v[60:61], v[70:71]
	v_pk_add_f32 v[70:71], v[24:25], v[10:11] neg_lo:[0,1] neg_hi:[0,1]
	v_pk_add_f32 v[60:61], v[60:61], v[90:91]
	v_pk_add_f32 v[90:91], v[20:21], v[44:45] neg_lo:[0,1] neg_hi:[0,1]
	ds_write2_b32 v100, v60, v61 offset0:6 offset1:7
	v_fmamk_f32 v31, v91, 0xbeedf032, v19
	v_pk_add_f32 v[60:61], v[24:25], v[10:11]
	v_add_f32_e32 v32, v53, v31
	v_mul_f32_e32 v31, 0x3f116cb1, v60
	v_fmamk_f32 v38, v71, 0xbf52af12, v31
	v_add_f32_e32 v32, v32, v38
	v_mul_f32_e32 v38, 0x3df6dbef, v62
	v_fmamk_f32 v40, v69, 0xbf7e222b, v38
	v_mov_b32_e32 v128, v46
	v_add_f32_e32 v46, v32, v40
	v_mov_b32_e32 v32, v15
	v_pk_add_f32 v[92:93], v[44:45], v[32:33] op_sel_hi:[1,0] neg_lo:[0,1] neg_hi:[0,1]
	v_add_f32_e32 v32, v18, v14
	v_mul_f32_e32 v40, 0xbeb58ec6, v32
	v_mov_b32_e32 v124, v48
	v_fmamk_f32 v48, v92, 0xbf6f5d39, v40
	v_pk_add_f32 v[64:65], v[26:27], v[16:17]
	v_add_f32_e32 v48, v46, v48
	v_mul_f32_e32 v46, 0xbf3f9e67, v64
	v_pk_add_f32 v[66:67], v[26:27], v[16:17] neg_lo:[0,1] neg_hi:[0,1]
	v_pk_add_f32 v[96:97], v[8:9], v[52:53]
	v_fmamk_f32 v94, v67, 0xbf29c268, v46
	v_add_f32_e32 v99, v48, v94
	v_mov_b32_e32 v48, v9
	v_mov_b32_e32 v137, v135
	;; [unrolled: 1-line block ×3, first 2 shown]
	v_pk_add_f32 v[94:95], v[48:49], v[0:1] op_sel_hi:[0,1] neg_lo:[0,1] neg_hi:[0,1]
	v_mul_f32_e32 v48, 0xbf788fa5, v96
	v_pk_add_f32 v[134:135], v[136:137], v[134:135]
	v_mov_b32_e32 v116, v50
	v_fmamk_f32 v102, v94, 0xbe750f2a, v48
	v_pk_add_f32 v[116:117], v[116:117], v[134:135]
	v_mov_b32_e32 v55, v121
	v_add_f32_e32 v50, v115, v114
	v_add_f32_e32 v99, v99, v102
	;; [unrolled: 1-line block ×3, first 2 shown]
	v_pk_add_f32 v[116:117], v[54:55], v[116:117]
	v_add_f32_e32 v55, v119, v118
	v_add_f32_e32 v50, v102, v50
	;; [unrolled: 1-line block ×4, first 2 shown]
	v_pk_add_f32 v[116:117], v[124:125], v[116:117]
	v_add_f32_e32 v72, v127, v126
	v_add_f32_e32 v50, v50, v58
	v_pk_add_f32 v[116:117], v[128:129], v[116:117]
	v_mov_b32_e32 v132, v36
	v_add_f32_e32 v101, v131, v130
	v_add_f32_e32 v50, v50, v72
	v_pk_add_f32 v[116:117], v[132:133], v[116:117]
	v_add_f32_e32 v50, v50, v101
	v_cmp_gt_u32_e64 s[0:1], 36, v98
	ds_write2_b32 v100, v116, v117 offset1:1
	ds_write_b32 v100, v50 offset:48
	s_and_saveexec_b64 s[70:71], s[0:1]
	s_cbranch_execz .LBB0_16
; %bb.15:
	v_mul_f32_e32 v55, 0xbeedf032, v91
	v_sub_f32_e32 v143, v19, v55
	v_add_f32_e32 v19, v53, v20
	v_add_f32_e32 v19, v19, v24
	;; [unrolled: 1-line block ×5, first 2 shown]
	v_mul_f32_e32 v101, 0xbf52af12, v71
	v_add_f32_e32 v142, v19, v8
	v_mul_f32_e32 v103, 0xbf7e222b, v69
	v_sub_f32_e32 v145, v31, v101
	v_pk_add_f32 v[142:143], v[142:143], v[52:53]
	v_mov_b32_e32 v144, v16
	v_mul_f32_e32 v105, 0xbf6f5d39, v92
	v_sub_f32_e32 v147, v38, v103
	v_pk_add_f32 v[142:143], v[144:145], v[142:143]
	v_mov_b32_e32 v146, v14
	v_mul_f32_e32 v107, 0xbf29c268, v67
	v_sub_f32_e32 v149, v40, v105
	v_pk_add_f32 v[142:143], v[146:147], v[142:143]
	v_mov_b32_e32 v148, v12
	v_mul_f32_e32 v109, 0xbe750f2a, v94
	v_sub_f32_e32 v151, v46, v107
	v_pk_add_f32 v[142:143], v[148:149], v[142:143]
	v_mov_b32_e32 v150, v10
	v_sub_f32_e32 v31, v48, v109
	v_pk_add_f32 v[142:143], v[150:151], v[142:143]
	v_pk_mul_f32 v[132:133], v[28:29], s[54:55] op_sel_hi:[0,1]
	v_add_u32_e32 v19, 0x7ec, v100
	v_pk_add_f32 v[142:143], v[30:31], v[142:143]
	v_pk_mul_f32 v[134:135], v[60:61], s[52:53] op_sel_hi:[0,1]
	ds_write2_b32 v19, v142, v143 offset1:1
	v_pk_fma_f32 v[142:143], v[90:91], s[56:57], v[132:133] op_sel:[1,0,0] neg_lo:[1,0,0] neg_hi:[1,0,0]
	v_pk_mul_f32 v[136:137], v[62:63], s[58:59] op_sel_hi:[0,1]
	v_pk_add_f32 v[142:143], v[52:53], v[142:143] op_sel:[1,0]
	v_pk_fma_f32 v[144:145], v[70:71], s[60:61], v[134:135] op_sel:[1,0,0] neg_lo:[1,0,0] neg_hi:[1,0,0]
	v_pk_mul_f32 v[138:139], v[32:33], s[44:45] op_sel_hi:[0,1]
	v_pk_add_f32 v[142:143], v[142:143], v[144:145]
	v_pk_fma_f32 v[144:145], v[68:69], s[66:67], v[136:137] op_sel:[1,0,0] neg_lo:[1,0,0] neg_hi:[1,0,0]
	v_pk_mul_f32 v[140:141], v[64:65], s[62:63] op_sel_hi:[0,1]
	v_pk_add_f32 v[142:143], v[142:143], v[144:145]
	v_pk_fma_f32 v[144:145], v[92:93], s[14:15], v[138:139] op_sel_hi:[0,1,1] neg_lo:[1,0,0] neg_hi:[1,0,0]
	v_mul_f32_e32 v116, 0x3df6dbef, v96
	v_pk_mul_f32 v[130:131], v[96:97], s[42:43] op_sel_hi:[0,1]
	v_pk_mul_f32 v[96:97], v[96:97], s[64:65] op_sel_hi:[0,1]
	v_pk_add_f32 v[142:143], v[142:143], v[144:145]
	v_pk_fma_f32 v[144:145], v[66:67], s[18:19], v[140:141] op_sel:[1,0,0] neg_lo:[1,0,0] neg_hi:[1,0,0]
	v_pk_mul_f32 v[120:121], v[28:29], s[28:29] op_sel_hi:[0,1]
	v_pk_add_f32 v[142:143], v[142:143], v[144:145]
	v_pk_fma_f32 v[144:145], v[94:95], s[68:69], v[96:97] op_sel_hi:[0,1,1] neg_lo:[1,0,0] neg_hi:[1,0,0]
	v_add_u32_e32 v10, 0x7f4, v100
	v_pk_add_f32 v[142:143], v[142:143], v[144:145]
	v_pk_mul_f32 v[122:123], v[60:61], s[20:21] op_sel_hi:[0,1]
	ds_write2_b32 v10, v142, v143 offset1:1
	v_pk_fma_f32 v[142:143], v[90:91], s[24:25], v[120:121] op_sel:[1,0,0] neg_lo:[1,0,0] neg_hi:[1,0,0]
	v_pk_mul_f32 v[124:125], v[62:63], s[34:35] op_sel_hi:[0,1]
	v_pk_add_f32 v[142:143], v[52:53], v[142:143] op_sel:[1,0]
	v_pk_fma_f32 v[144:145], v[70:71], s[26:27], v[122:123] op_sel:[1,0,0] neg_lo:[1,0,0] neg_hi:[1,0,0]
	v_pk_mul_f32 v[126:127], v[32:33], s[36:37] op_sel_hi:[0,1]
	v_pk_add_f32 v[142:143], v[142:143], v[144:145]
	v_pk_fma_f32 v[144:145], v[68:69], s[40:41], v[124:125] op_sel:[1,0,0] neg_lo:[1,0,0] neg_hi:[1,0,0]
	v_pk_mul_f32 v[128:129], v[64:65], s[38:39] op_sel_hi:[0,1]
	v_pk_add_f32 v[142:143], v[142:143], v[144:145]
	v_pk_fma_f32 v[144:145], v[92:93], s[46:47], v[126:127] op_sel_hi:[0,1,1] neg_lo:[1,0,0] neg_hi:[1,0,0]
	v_pk_add_f32 v[142:143], v[142:143], v[144:145]
	v_pk_fma_f32 v[144:145], v[66:67], s[48:49], v[128:129] op_sel:[1,0,0] neg_lo:[1,0,0] neg_hi:[1,0,0]
	v_mul_f32_e32 v50, 0xbf788fa5, v28
	v_pk_add_f32 v[142:143], v[142:143], v[144:145]
	v_pk_fma_f32 v[144:145], v[94:95], s[50:51], v[130:131] op_sel_hi:[0,1,1] neg_lo:[1,0,0] neg_hi:[1,0,0]
	v_mul_f32_e32 v58, 0xbe750f2a, v91
	v_add_u32_e32 v10, 0x7fc, v100
	v_pk_add_f32 v[142:143], v[142:143], v[144:145]
	v_mul_f32_e32 v72, 0x3f62ad3f, v60
	v_mul_f32_e32 v102, 0x3eedf032, v71
	ds_write2_b32 v10, v142, v143 offset1:1
	v_pk_add_f32 v[142:143], v[50:51], v[58:59] neg_lo:[0,1] neg_hi:[0,1]
	v_pk_add_f32 v[144:145], v[50:51], v[58:59]
	v_mul_f32_e32 v104, 0xbf3f9e67, v62
	v_mov_b32_e32 v143, v144
	v_pk_add_f32 v[144:145], v[72:73], v[102:103] neg_lo:[0,1] neg_hi:[0,1]
	v_pk_add_f32 v[102:103], v[72:73], v[102:103]
	v_mul_f32_e32 v106, 0xbf29c268, v69
	v_pk_add_f32 v[142:143], v[52:53], v[142:143] op_sel:[1,0]
	v_mov_b32_e32 v145, v102
	v_mul_f32_e32 v108, 0x3f116cb1, v32
	v_mul_f32_e32 v110, 0x3f52af12, v92
	v_pk_add_f32 v[102:103], v[142:143], v[144:145]
	v_pk_add_f32 v[142:143], v[104:105], v[106:107] neg_lo:[0,1] neg_hi:[0,1]
	v_pk_add_f32 v[104:105], v[104:105], v[106:107]
	v_pk_add_f32 v[106:107], v[108:109], v[110:111]
	v_mov_b32_e32 v143, v104
	v_pk_add_f32 v[104:105], v[108:109], v[110:111] neg_lo:[0,1] neg_hi:[0,1]
	v_mul_f32_e32 v112, 0xbeb58ec6, v64
	v_mul_f32_e32 v114, 0xbf6f5d39, v67
	v_pk_add_f32 v[102:103], v[102:103], v[142:143]
	v_mov_b32_e32 v105, v106
	v_pk_add_f32 v[102:103], v[102:103], v[104:105]
	v_pk_add_f32 v[104:105], v[112:113], v[114:115] neg_lo:[0,1] neg_hi:[0,1]
	v_pk_add_f32 v[106:107], v[112:113], v[114:115]
	v_mul_f32_e32 v118, 0x3f7e222b, v94
	v_mov_b32_e32 v105, v106
	v_pk_add_f32 v[102:103], v[102:103], v[104:105]
	v_pk_add_f32 v[104:105], v[116:117], v[118:119] neg_lo:[0,1] neg_hi:[0,1]
	v_pk_add_f32 v[106:107], v[116:117], v[118:119]
	v_add_u32_e32 v10, 0x804, v100
	v_mov_b32_e32 v105, v106
	v_pk_add_f32 v[102:103], v[102:103], v[104:105]
	ds_write2_b32 v10, v102, v103 offset1:1
	v_pk_fma_f32 v[102:103], v[90:91], s[24:25], v[120:121] op_sel:[1,0,0]
	v_pk_fma_f32 v[104:105], v[70:71], s[26:27], v[122:123] op_sel:[1,0,0]
	v_pk_add_f32 v[102:103], v[52:53], v[102:103] op_sel:[1,0]
	v_add_u32_e32 v12, 0x80c, v100
	v_pk_add_f32 v[102:103], v[102:103], v[104:105]
	v_pk_fma_f32 v[104:105], v[68:69], s[40:41], v[124:125] op_sel:[1,0,0]
	v_pk_fma_f32 v[90:91], v[90:91], s[56:57], v[132:133] op_sel:[1,0,0]
	v_pk_add_f32 v[102:103], v[102:103], v[104:105]
	v_pk_fma_f32 v[104:105], v[92:93], s[46:47], v[126:127] op_sel_hi:[0,1,1]
	v_pk_add_f32 v[102:103], v[102:103], v[104:105]
	v_pk_fma_f32 v[104:105], v[66:67], s[48:49], v[128:129] op_sel:[1,0,0]
	v_pk_add_f32 v[90:91], v[52:53], v[90:91] op_sel:[1,0]
	v_pk_add_f32 v[102:103], v[102:103], v[104:105]
	v_pk_fma_f32 v[104:105], v[94:95], s[50:51], v[130:131] op_sel_hi:[0,1,1]
	v_pk_add_f32 v[102:103], v[102:103], v[104:105]
	ds_write2_b32 v12, v103, v102 offset1:1
	v_pk_fma_f32 v[102:103], v[70:71], s[60:61], v[134:135] op_sel:[1,0,0]
	v_pk_fma_f32 v[92:93], v[92:93], s[14:15], v[138:139] op_sel_hi:[0,1,1]
	v_pk_add_f32 v[90:91], v[90:91], v[102:103]
	v_pk_fma_f32 v[102:103], v[68:69], s[66:67], v[136:137] op_sel:[1,0,0]
	v_add_u32_e32 v12, 0x814, v100
	v_pk_add_f32 v[90:91], v[90:91], v[102:103]
	s_nop 0
	v_pk_add_f32 v[90:91], v[90:91], v[92:93]
	v_pk_fma_f32 v[92:93], v[66:67], s[18:19], v[140:141] op_sel:[1,0,0]
	s_nop 0
	v_pk_add_f32 v[90:91], v[90:91], v[92:93]
	v_pk_fma_f32 v[92:93], v[94:95], s[68:69], v[96:97] op_sel_hi:[0,1,1]
	v_pk_add_f32 v[90:91], v[90:91], v[92:93]
	ds_write2_b32 v12, v91, v90 offset1:1
	ds_write_b32 v100, v99 offset:2076
	v_mov_b32_e32 v10, v91
	v_mov_b32_e32 v19, v90
.LBB0_16:
	s_or_b64 exec, exec, s[70:71]
	v_add_f32_e32 v12, v7, v57
	v_add_f32_e32 v26, v12, v41
	v_mov_b32_e32 v40, v75
	v_mov_b32_e32 v41, v78
	v_pk_mul_f32 v[92:93], v[40:41], s[30:31]
	v_mov_b32_e32 v10, v43
	v_mov_b32_e32 v19, v92
	v_sub_f32_e32 v31, v92, v93
	v_mov_b32_e32 v92, v77
	v_mov_b32_e32 v93, v82
	v_pk_mul_f32 v[94:95], v[92:93], s[4:5]
	v_pk_add_f32 v[90:91], v[10:11], v[36:37] neg_lo:[0,1] neg_hi:[0,1]
	v_pk_fma_f32 v[40:41], v[40:41], s[30:31], v[18:19]
	v_add_f32_e32 v36, v26, v35
	v_mov_b32_e32 v19, v94
	v_sub_f32_e32 v35, v94, v95
	v_mov_b32_e32 v94, v59
	v_mov_b32_e32 v95, v42
	v_mov_b32_e32 v96, v56
	v_mov_b32_e32 v97, v54
	v_pk_add_f32 v[54:55], v[94:95], v[96:97]
	v_pk_add_f32 v[94:95], v[94:95], v[96:97] neg_lo:[0,1] neg_hi:[0,1]
	v_mov_b32_e32 v96, v54
	v_mov_b32_e32 v97, v95
	v_pk_mul_f32 v[102:103], v[96:97], s[12:13]
	v_pk_fma_f32 v[92:93], v[92:93], s[4:5], v[18:19]
	v_mov_b32_e32 v19, v102
	v_sub_f32_e32 v42, v102, v103
	v_mov_b32_e32 v102, v81
	v_mov_b32_e32 v103, v88
	v_pk_add_f32 v[56:57], v[36:37], v[56:57]
	v_mov_b32_e32 v72, v39
	v_pk_mul_f32 v[104:105], v[102:103], s[2:3]
	v_pk_add_f32 v[106:107], v[56:57], v[72:73]
	v_pk_mul_f32 v[108:109], v[56:57], v[72:73]
	v_pk_fma_f32 v[96:97], v[96:97], s[12:13], v[18:19]
	v_mov_b32_e32 v19, v104
	v_mov_b32_e32 v107, v109
	v_fmac_f32_e32 v109, 0x3eedf032, v90
	v_pk_fma_f32 v[102:103], v[102:103], s[2:3], v[18:19]
	v_add_f32_e32 v19, v109, v7
	v_add_f32_e32 v19, v19, v31
	v_add_f32_e32 v19, v19, v35
	v_mul_f32_e32 v43, 0xbeedf032, v90
	v_add_f32_e32 v19, v19, v42
	v_mov_b32_e32 v42, v29
	v_mov_b32_e32 v110, v33
	v_mov_b32_e32 v111, v7
	v_pk_add_f32 v[42:43], v[106:107], v[42:43]
	v_mov_b32_e32 v40, v51
	v_pk_add_f32 v[42:43], v[42:43], v[110:111]
	v_mov_b32_e32 v92, v59
	;; [unrolled: 2-line block ×3, first 2 shown]
	v_mov_b32_e32 v43, v86
	v_sub_f32_e32 v31, v104, v105
	v_pk_mul_f32 v[50:51], v[42:43], s[22:23]
	v_mov_b32_e32 v96, v49
	v_add_f32_e32 v31, v19, v31
	v_pk_add_f32 v[40:41], v[92:93], v[40:41]
	v_mov_b32_e32 v19, v50
	v_mov_b32_e32 v102, v47
	v_pk_add_f32 v[40:41], v[96:97], v[40:41]
	v_pk_fma_f32 v[42:43], v[42:43], s[22:23], v[18:19]
	v_pk_add_f32 v[40:41], v[102:103], v[40:41]
	v_mov_b32_e32 v42, v37
	v_pk_add_f32 v[92:93], v[42:43], v[40:41]
	v_pk_mul_f32 v[40:41], v[90:91], s[56:57] op_sel_hi:[0,1]
	v_pk_mul_f32 v[42:43], v[78:79], s[60:61] op_sel_hi:[0,1]
	v_pk_fma_f32 v[106:107], v[56:57], s[54:55], v[40:41] op_sel:[1,0,0]
	v_sub_f32_e32 v19, v50, v51
	v_pk_fma_f32 v[50:51], v[74:75], s[52:53], v[42:43] op_sel:[1,0,0]
	v_pk_mul_f32 v[58:59], v[82:83], s[66:67] op_sel_hi:[0,1]
	v_pk_add_f32 v[106:107], v[106:107], v[6:7] op_sel:[0,1]
	v_pk_fma_f32 v[96:97], v[76:77], s[58:59], v[58:59] op_sel:[1,0,0]
	v_pk_mul_f32 v[102:103], v[94:95], s[14:15] op_sel:[1,0]
	v_pk_add_f32 v[50:51], v[106:107], v[50:51]
	v_pk_fma_f32 v[104:105], v[54:55], s[44:45], v[102:103] op_sel_hi:[0,1,1]
	v_pk_add_f32 v[50:51], v[50:51], v[96:97]
	v_pk_mul_f32 v[96:97], v[88:89], s[18:19] op_sel_hi:[0,1]
	v_pk_add_f32 v[50:51], v[50:51], v[104:105]
	v_pk_fma_f32 v[104:105], v[80:81], s[62:63], v[96:97] op_sel:[1,0,0]
	v_pk_fma_f32 v[40:41], v[56:57], s[54:55], v[40:41] op_sel:[1,0,0] neg_lo:[0,0,1] neg_hi:[0,0,1]
	v_pk_add_f32 v[50:51], v[50:51], v[104:105]
	v_pk_mul_f32 v[104:105], v[86:87], s[68:69] op_sel_hi:[0,1]
	v_pk_fma_f32 v[106:107], v[84:85], s[64:65], v[104:105] op_sel:[1,0,0]
	v_pk_fma_f32 v[42:43], v[74:75], s[52:53], v[42:43] op_sel:[1,0,0] neg_lo:[0,0,1] neg_hi:[0,0,1]
	v_pk_add_f32 v[40:41], v[40:41], v[6:7] op_sel:[0,1]
	v_pk_add_f32 v[106:107], v[50:51], v[106:107]
	v_pk_fma_f32 v[50:51], v[76:77], s[58:59], v[58:59] op_sel:[1,0,0] neg_lo:[0,0,1] neg_hi:[0,0,1]
	v_pk_add_f32 v[40:41], v[40:41], v[42:43]
	v_pk_fma_f32 v[58:59], v[54:55], s[44:45], v[102:103] op_sel_hi:[0,1,1] neg_lo:[0,0,1] neg_hi:[0,0,1]
	v_pk_add_f32 v[40:41], v[40:41], v[50:51]
	v_pk_fma_f32 v[42:43], v[80:81], s[62:63], v[96:97] op_sel:[1,0,0] neg_lo:[0,0,1] neg_hi:[0,0,1]
	v_pk_add_f32 v[40:41], v[40:41], v[58:59]
	v_mul_f32_e32 v28, 0xbf29c268, v82
	v_pk_add_f32 v[40:41], v[40:41], v[42:43]
	v_pk_fma_f32 v[42:43], v[84:85], s[64:65], v[104:105] op_sel:[1,0,0] neg_lo:[0,0,1] neg_hi:[0,0,1]
	v_mul_f32_e32 v38, 0x3f52af12, v95
	v_pk_add_f32 v[96:97], v[40:41], v[42:43]
	v_pk_mul_f32 v[40:41], v[90:91], s[24:25] op_sel_hi:[0,1]
	v_pk_mul_f32 v[42:43], v[78:79], s[26:27] op_sel_hi:[0,1]
	;; [unrolled: 1-line block ×3, first 2 shown]
	v_pk_mul_f32 v[82:83], v[94:95], s[46:47] op_sel:[1,0]
	v_pk_fma_f32 v[94:95], v[56:57], s[28:29], v[40:41] op_sel:[1,0,0]
	v_pk_fma_f32 v[50:51], v[74:75], s[20:21], v[42:43] op_sel:[1,0,0]
	v_pk_add_f32 v[94:95], v[94:95], v[6:7] op_sel:[0,1]
	v_mul_f32_e32 v16, 0x3eedf032, v78
	v_pk_fma_f32 v[78:79], v[76:77], s[34:35], v[58:59] op_sel:[1,0,0]
	v_pk_add_f32 v[50:51], v[94:95], v[50:51]
	v_mul_f32_e32 v10, 0xbe750f2a, v90
	v_pk_fma_f32 v[90:91], v[54:55], s[36:37], v[82:83] op_sel_hi:[0,1,1]
	v_pk_add_f32 v[50:51], v[50:51], v[78:79]
	v_pk_mul_f32 v[78:79], v[88:89], s[48:49] op_sel_hi:[0,1]
	v_mul_f32_e32 v48, 0xbf6f5d39, v88
	v_pk_add_f32 v[50:51], v[50:51], v[90:91]
	v_pk_fma_f32 v[88:89], v[80:81], s[38:39], v[78:79] op_sel:[1,0,0]
	v_pk_fma_f32 v[40:41], v[56:57], s[28:29], v[40:41] op_sel:[1,0,0] neg_lo:[0,0,1] neg_hi:[0,0,1]
	v_pk_add_f32 v[50:51], v[50:51], v[88:89]
	v_pk_mul_f32 v[88:89], v[86:87], s[50:51] op_sel_hi:[0,1]
	v_pk_fma_f32 v[90:91], v[84:85], s[42:43], v[88:89] op_sel:[1,0,0]
	v_pk_fma_f32 v[42:43], v[74:75], s[20:21], v[42:43] op_sel:[1,0,0] neg_lo:[0,0,1] neg_hi:[0,0,1]
	v_pk_add_f32 v[40:41], v[40:41], v[6:7] op_sel:[0,1]
	v_pk_add_f32 v[90:91], v[50:51], v[90:91]
	v_pk_fma_f32 v[50:51], v[76:77], s[34:35], v[58:59] op_sel:[1,0,0] neg_lo:[0,0,1] neg_hi:[0,0,1]
	v_pk_add_f32 v[40:41], v[40:41], v[42:43]
	v_mul_f32_e32 v12, 0x3f62ad3f, v75
	v_mul_f32_e32 v32, 0x3f116cb1, v54
	v_pk_fma_f32 v[54:55], v[54:55], s[36:37], v[82:83] op_sel_hi:[0,1,1] neg_lo:[0,0,1] neg_hi:[0,0,1]
	v_pk_add_f32 v[40:41], v[40:41], v[50:51]
	v_mul_f32_e32 v26, 0xbf3f9e67, v77
	v_pk_add_f32 v[40:41], v[40:41], v[54:55]
	v_pk_add_f32 v[50:51], v[12:13], v[16:17]
	v_pk_add_f32 v[54:55], v[12:13], v[16:17] neg_lo:[0,1] neg_hi:[0,1]
	v_mul_f32_e32 v36, 0xbf788fa5, v57
	v_mov_b32_e32 v51, v54
	v_pk_add_f32 v[54:55], v[26:27], v[28:29]
	v_pk_add_f32 v[28:29], v[26:27], v[28:29] neg_lo:[0,1] neg_hi:[0,1]
	v_mul_f32_e32 v46, 0xbeb58ec6, v81
	v_mov_b32_e32 v55, v28
	v_pk_add_f32 v[28:29], v[32:33], v[38:39]
	v_pk_add_f32 v[32:33], v[32:33], v[38:39] neg_lo:[0,1] neg_hi:[0,1]
	v_pk_fma_f32 v[42:43], v[80:81], s[38:39], v[78:79] op_sel:[1,0,0] neg_lo:[0,0,1] neg_hi:[0,0,1]
	v_mov_b32_e32 v29, v32
	v_pk_add_f32 v[32:33], v[36:37], v[10:11]
	v_pk_add_f32 v[36:37], v[36:37], v[10:11] neg_lo:[0,1] neg_hi:[0,1]
	v_pk_add_f32 v[40:41], v[40:41], v[42:43]
	v_mov_b32_e32 v33, v36
	v_pk_add_f32 v[6:7], v[32:33], v[6:7] op_sel:[0,1]
	v_pk_fma_f32 v[42:43], v[84:85], s[42:43], v[88:89] op_sel:[1,0,0] neg_lo:[0,0,1] neg_hi:[0,0,1]
	v_pk_add_f32 v[6:7], v[6:7], v[50:51]
	v_pk_add_f32 v[32:33], v[46:47], v[48:49] neg_lo:[0,1] neg_hi:[0,1]
	v_pk_add_f32 v[6:7], v[6:7], v[54:55]
	v_pk_add_f32 v[88:89], v[40:41], v[42:43]
	;; [unrolled: 1-line block ×4, first 2 shown]
	v_mul_f32_e32 v40, 0x3df6dbef, v85
	v_mul_f32_e32 v42, 0x3f7e222b, v86
	v_mov_b32_e32 v29, v32
	v_pk_add_f32 v[6:7], v[6:7], v[28:29]
	v_pk_add_f32 v[28:29], v[40:41], v[42:43]
	v_pk_add_f32 v[32:33], v[40:41], v[42:43] neg_lo:[0,1] neg_hi:[0,1]
	v_sub_f32_e32 v10, v20, v30
	v_mov_b32_e32 v29, v32
	v_pk_add_f32 v[86:87], v[6:7], v[28:29]
	v_pk_add_f32 v[6:7], v[0:1], v[20:21]
	v_add_f32_e32 v101, v31, v19
	v_pk_add_f32 v[6:7], v[6:7], v[24:25]
	v_mov_b32_e32 v12, v45
	v_pk_add_f32 v[6:7], v[6:7], v[22:23]
	v_mov_b32_e32 v19, v44
	v_mov_b32_e32 v20, v7
	v_pk_add_f32 v[44:45], v[20:21], v[44:45]
	v_mov_b32_e32 v72, v27
	v_mov_b32_e32 v22, v61
	;; [unrolled: 1-line block ×3, first 2 shown]
	v_pk_mul_f32 v[6:7], v[44:45], v[72:73]
	v_pk_mul_f32 v[56:57], v[22:23], s[30:31]
	v_mov_b32_e32 v22, v63
	v_mov_b32_e32 v23, v68
	v_pk_add_f32 v[42:43], v[18:19], v[14:15]
	v_pk_add_f32 v[50:51], v[18:19], v[14:15] neg_lo:[0,1] neg_hi:[0,1]
	v_fmamk_f32 v6, v10, 0x3eedf032, v7
	v_sub_f32_e32 v16, v56, v57
	v_pk_mul_f32 v[54:55], v[22:23], s[4:5]
	v_mov_b32_e32 v18, v43
	v_mov_b32_e32 v19, v50
	v_add_f32_e32 v6, v1, v6
	v_mov_b32_e32 v53, v0
	v_sub_f32_e32 v22, v54, v55
	v_pk_mul_f32 v[74:75], v[18:19], s[12:13]
	v_mov_b32_e32 v18, v65
	v_mov_b32_e32 v19, v66
	v_add_f32_e32 v6, v6, v16
	v_pk_add_f32 v[46:47], v[8:9], v[52:53]
	v_pk_add_f32 v[48:49], v[8:9], v[52:53] neg_lo:[0,1] neg_hi:[0,1]
	v_sub_f32_e32 v14, v74, v75
	v_pk_mul_f32 v[58:59], v[18:19], s[2:3]
	v_add_f32_e32 v6, v6, v22
	v_mov_b32_e32 v18, v47
	v_mov_b32_e32 v19, v48
	v_add_f32_e32 v6, v6, v14
	v_sub_f32_e32 v14, v58, v59
	v_pk_mul_f32 v[52:53], v[18:19], s[22:23]
	v_add_f32_e32 v6, v6, v14
	v_sub_f32_e32 v8, v52, v53
	v_add_f32_e32 v80, v6, v8
	v_lshlrev_b32_e32 v6, 2, v98
	v_lshlrev_b32_e32 v79, 2, v34
	v_add_u32_e32 v8, 0, v6
	v_add_u32_e32 v78, v8, v79
	v_add3_u32 v77, 0, v79, v6
	v_add_u32_e32 v8, 0x400, v78
	v_add_u32_e32 v81, 0x800, v78
	;; [unrolled: 1-line block ×4, first 2 shown]
	s_waitcnt lgkmcnt(0)
	s_barrier
	ds_read_b32 v84, v77
	ds_read2_b32 v[38:39], v78 offset0:195 offset1:234
	ds_read2_b32 v[24:25], v8 offset0:95 offset1:134
	;; [unrolled: 1-line block ×10, first 2 shown]
	v_add_u32_e32 v85, 0x600, v78
	ds_read2_b32 v[28:29], v85 offset0:123 offset1:162
	ds_read2_b32 v[26:27], v83 offset0:129 offset1:168
	v_add_u32_e32 v76, 39, v98
	s_waitcnt lgkmcnt(0)
	s_barrier
	ds_write2_b32 v100, v92, v93 offset1:1
	ds_write2_b32 v100, v106, v107 offset0:2 offset1:3
	ds_write2_b32 v100, v90, v91 offset0:4 offset1:5
	;; [unrolled: 1-line block ×4, first 2 shown]
	v_mov_b32_e32 v14, v97
	ds_write2_b32 v100, v97, v96 offset0:10 offset1:11
	ds_write_b32 v100, v101 offset:48
	s_and_saveexec_b64 s[2:3], s[0:1]
	s_cbranch_execz .LBB0_18
; %bb.17:
	v_pk_add_f32 v[72:73], v[44:45], v[72:73]
	v_mul_f32_e32 v87, 0xbeedf032, v10
	v_mov_b32_e32 v89, v56
	v_mov_b32_e32 v73, v7
	;; [unrolled: 1-line block ×3, first 2 shown]
	v_pk_add_f32 v[56:57], v[88:89], v[56:57]
	v_mul_f32_e32 v88, 0x3eedf032, v70
	v_mov_b32_e32 v89, v54
	v_pk_add_f32 v[72:73], v[72:73], v[86:87]
	v_pk_add_f32 v[54:55], v[88:89], v[54:55]
	v_mov_b32_e32 v89, v74
	v_pk_add_f32 v[72:73], v[72:73], v[0:1]
	v_mov_b32_e32 v56, v17
	;; [unrolled: 2-line block ×4, first 2 shown]
	v_pk_add_f32 v[58:59], v[88:89], v[58:59]
	v_pk_add_f32 v[54:55], v[54:55], v[56:57]
	v_mov_b32_e32 v74, v13
	v_mov_b32_e32 v7, v52
	s_mov_b32 s24, 0xbf52af12
	v_pk_add_f32 v[54:55], v[74:75], v[54:55]
	v_mov_b32_e32 v58, v11
	v_pk_add_f32 v[52:53], v[6:7], v[52:53]
	s_mov_b32 s25, 0xbf7e222b
	s_mov_b32 s5, 0xbe750f2a
	;; [unrolled: 1-line block ×3, first 2 shown]
	v_pk_add_f32 v[54:55], v[58:59], v[54:55]
	s_mov_b32 s20, 0xbeb58ec6
	s_mov_b32 s4, 0xbf6f5d39
	v_mov_b32_e32 v13, v53
	v_pk_mul_f32 v[52:53], v[10:11], s[24:25] op_sel_hi:[0,1]
	s_mov_b32 s13, 0x3df6dbef
	s_mov_b32 s21, 0xbf788fa5
	v_pk_add_f32 v[12:13], v[12:13], v[54:55]
	v_pk_mul_f32 v[54:55], v[70:71], s[4:5] op_sel_hi:[0,1]
	s_mov_b32 s29, 0x3f6f5d39
	s_mov_b32 s28, s5
	v_pk_fma_f32 v[106:107], v[44:45], s[12:13], v[52:53] op_sel:[1,0,0]
	s_mov_b32 s15, 0x3eedf032
	v_pk_fma_f32 v[74:75], v[60:61], s[20:21], v[54:55] op_sel:[1,0,0]
	s_mov_b32 s26, s21
	s_mov_b32 s27, s20
	v_pk_mul_f32 v[86:87], v[68:69], s[28:29] op_sel_hi:[0,1]
	s_mov_b32 s14, 0x3f29c268
	v_pk_add_f32 v[106:107], v[0:1], v[106:107] op_sel:[1,0]
	v_pk_fma_f32 v[52:53], v[44:45], s[12:13], v[52:53] op_sel:[1,0,0] neg_lo:[0,0,1] neg_hi:[0,0,1]
	s_mov_b32 s1, 0x3f62ad3f
	s_mov_b32 s0, 0xbf3f9e67
	v_pk_fma_f32 v[100:101], v[62:63], s[26:27], v[86:87] op_sel:[1,0,0]
	v_pk_mul_f32 v[102:103], v[50:51], s[14:15] op_sel_hi:[0,1]
	v_pk_add_f32 v[74:75], v[106:107], v[74:75]
	s_mov_b32 s30, 0x3f7e222b
	s_mov_b32 s31, s24
	v_pk_fma_f32 v[54:55], v[60:61], s[20:21], v[54:55] op_sel:[1,0,0] neg_lo:[0,0,1] neg_hi:[0,0,1]
	v_pk_add_f32 v[52:53], v[0:1], v[52:53] op_sel:[1,0]
	v_pk_fma_f32 v[104:105], v[42:43], s[0:1], v[102:103] op_sel:[1,0,0]
	v_pk_add_f32 v[74:75], v[74:75], v[100:101]
	s_mov_b32 s28, s13
	s_mov_b32 s29, s12
	v_pk_mul_f32 v[100:101], v[66:67], s[30:31] op_sel_hi:[0,1]
	v_pk_fma_f32 v[86:87], v[62:63], s[26:27], v[86:87] op_sel:[1,0,0] neg_lo:[0,0,1] neg_hi:[0,0,1]
	v_pk_add_f32 v[52:53], v[52:53], v[54:55]
	s_mov_b32 s23, 0xbf29c268
	v_pk_add_f32 v[74:75], v[74:75], v[104:105]
	v_pk_fma_f32 v[104:105], v[64:65], s[28:29], v[100:101] op_sel:[1,0,0]
	s_mov_b32 s22, s15
	v_pk_fma_f32 v[102:103], v[42:43], s[0:1], v[102:103] op_sel:[1,0,0] neg_lo:[0,0,1] neg_hi:[0,0,1]
	v_pk_add_f32 v[52:53], v[52:53], v[86:87]
	v_pk_add_f32 v[74:75], v[74:75], v[104:105]
	s_mov_b32 s34, s1
	s_mov_b32 s35, s0
	v_pk_mul_f32 v[104:105], v[48:49], s[22:23] op_sel_hi:[0,1]
	v_pk_add_f32 v[52:53], v[52:53], v[102:103]
	v_pk_fma_f32 v[54:55], v[64:65], s[28:29], v[100:101] op_sel:[1,0,0] neg_lo:[0,0,1] neg_hi:[0,0,1]
	s_mov_b32 s5, s23
	v_mul_f32_e32 v14, 0xbe750f2a, v10
	v_pk_add_f32 v[52:53], v[52:53], v[54:55]
	v_pk_fma_f32 v[54:55], v[46:47], s[34:35], v[104:105] op_sel:[1,0,0] neg_lo:[0,0,1] neg_hi:[0,0,1]
	v_pk_mul_f32 v[10:11], v[10:11], s[4:5] op_sel_hi:[0,1]
	s_mov_b32 s26, s14
	s_mov_b32 s27, s30
	;; [unrolled: 1-line block ×6, first 2 shown]
	v_pk_add_f32 v[52:53], v[52:53], v[54:55]
	s_mov_b32 s22, s0
	s_mov_b32 s23, s13
	v_pk_mul_f32 v[54:55], v[70:71], s[26:27] op_sel_hi:[0,1]
	s_mov_b32 s28, s15
	v_pk_fma_f32 v[102:103], v[44:45], s[24:25], v[10:11] op_sel:[1,0,0]
	v_mul_f32_e32 v92, 0xbf29c268, v68
	v_pk_fma_f32 v[70:71], v[60:61], s[22:23], v[54:55] op_sel:[1,0,0]
	s_mov_b32 s26, s1
	s_mov_b32 s27, s12
	v_pk_mul_f32 v[68:69], v[68:69], s[28:29] op_sel_hi:[0,1]
	s_mov_b32 s31, 0x3e750f2a
	v_pk_add_f32 v[102:103], v[0:1], v[102:103] op_sel:[1,0]
	v_pk_fma_f32 v[10:11], v[44:45], s[24:25], v[10:11] op_sel:[1,0,0] neg_lo:[0,0,1] neg_hi:[0,0,1]
	v_mul_f32_e32 v96, 0x3f52af12, v50
	v_pk_fma_f32 v[86:87], v[62:63], s[26:27], v[68:69] op_sel:[1,0,0]
	s_mov_b32 s28, s13
	s_mov_b32 s29, s21
	v_pk_mul_f32 v[50:51], v[50:51], s[30:31] op_sel_hi:[0,1]
	v_pk_add_f32 v[70:71], v[102:103], v[70:71]
	s_mov_b32 s14, s31
	v_pk_fma_f32 v[54:55], v[60:61], s[22:23], v[54:55] op_sel:[1,0,0] neg_lo:[0,0,1] neg_hi:[0,0,1]
	v_pk_add_f32 v[10:11], v[0:1], v[10:11] op_sel:[1,0]
	v_mul_f32_e32 v16, 0x3f62ad3f, v61
	v_mul_f32_e32 v72, 0xbf6f5d39, v66
	v_pk_fma_f32 v[100:101], v[42:43], s[28:29], v[50:51] op_sel:[1,0,0]
	v_pk_add_f32 v[70:71], v[70:71], v[86:87]
	s_mov_b32 s0, s21
	v_pk_mul_f32 v[66:67], v[66:67], s[14:15] op_sel_hi:[0,1]
	v_pk_fma_f32 v[60:61], v[62:63], s[26:27], v[68:69] op_sel:[1,0,0] neg_lo:[0,0,1] neg_hi:[0,0,1]
	v_pk_add_f32 v[10:11], v[10:11], v[54:55]
	v_mul_f32_e32 v94, 0x3f116cb1, v43
	s_mov_b32 s18, 0x3f52af12
	v_pk_add_f32 v[70:71], v[70:71], v[100:101]
	v_pk_fma_f32 v[86:87], v[64:65], s[0:1], v[66:67] op_sel:[1,0,0]
	s_mov_b32 s19, s4
	v_pk_fma_f32 v[42:43], v[42:43], s[28:29], v[50:51] op_sel:[1,0,0] neg_lo:[0,0,1] neg_hi:[0,0,1]
	v_pk_add_f32 v[10:11], v[10:11], v[60:61]
	v_pk_add_f32 v[70:71], v[70:71], v[86:87]
	s_mov_b32 s13, s20
	v_pk_mul_f32 v[86:87], v[48:49], s[18:19] op_sel_hi:[0,1]
	v_pk_add_f32 v[10:11], v[10:11], v[42:43]
	v_pk_fma_f32 v[42:43], v[64:65], s[0:1], v[66:67] op_sel:[1,0,0] neg_lo:[0,0,1] neg_hi:[0,0,1]
	v_mul_f32_e32 v90, 0xbf3f9e67, v63
	v_pk_add_f32 v[10:11], v[10:11], v[42:43]
	v_pk_fma_f32 v[42:43], v[46:47], s[12:13], v[86:87] op_sel:[1,0,0] neg_lo:[0,0,1] neg_hi:[0,0,1]
	v_pk_fma_f32 v[106:107], v[46:47], s[34:35], v[104:105] op_sel:[1,0,0]
	v_pk_fma_f32 v[100:101], v[46:47], s[12:13], v[86:87] op_sel:[1,0,0]
	v_pk_add_f32 v[10:11], v[10:11], v[42:43]
	v_mul_f32_e32 v42, 0x3df6dbef, v47
	v_pk_add_f32 v[46:47], v[16:17], v[88:89]
	v_pk_add_f32 v[16:17], v[16:17], v[88:89] neg_lo:[0,1] neg_hi:[0,1]
	v_mul_f32_e32 v44, 0x3f7e222b, v48
	v_mov_b32_e32 v47, v16
	v_pk_add_f32 v[16:17], v[90:91], v[92:93]
	v_pk_add_f32 v[48:49], v[90:91], v[92:93] neg_lo:[0,1] neg_hi:[0,1]
	v_mul_f32_e32 v56, 0xbf788fa5, v45
	v_mov_b32_e32 v17, v48
	;; [unrolled: 4-line block ×3, first 2 shown]
	v_pk_add_f32 v[50:51], v[56:57], v[14:15]
	v_pk_add_f32 v[14:15], v[56:57], v[14:15] neg_lo:[0,1] neg_hi:[0,1]
	v_mul_u32_u24_e32 v7, 52, v76
	v_mov_b32_e32 v51, v14
	v_pk_add_f32 v[0:1], v[0:1], v[50:51] op_sel:[1,0]
	v_pk_add_f32 v[14:15], v[58:59], v[72:73]
	v_pk_add_f32 v[0:1], v[0:1], v[46:47]
	v_add3_u32 v7, 0, v7, v79
	v_pk_add_f32 v[0:1], v[0:1], v[16:17]
	v_pk_add_f32 v[16:17], v[58:59], v[72:73] neg_lo:[0,1] neg_hi:[0,1]
	v_pk_add_f32 v[0:1], v[0:1], v[48:49]
	v_mov_b32_e32 v15, v16
	v_pk_add_f32 v[0:1], v[0:1], v[14:15]
	v_pk_add_f32 v[14:15], v[42:43], v[44:45]
	v_pk_add_f32 v[16:17], v[42:43], v[44:45] neg_lo:[0,1] neg_hi:[0,1]
	v_pk_add_f32 v[74:75], v[74:75], v[106:107]
	v_mov_b32_e32 v15, v16
	v_pk_add_f32 v[70:71], v[70:71], v[100:101]
	v_pk_add_f32 v[0:1], v[0:1], v[14:15]
	ds_write2_b32 v7, v12, v13 offset1:1
	ds_write2_b32 v7, v74, v75 offset0:2 offset1:3
	ds_write2_b32 v7, v70, v71 offset0:4 offset1:5
	;; [unrolled: 1-line block ×5, first 2 shown]
	ds_write_b32 v7, v80 offset:48
.LBB0_18:
	s_or_b64 exec, exec, s[2:3]
	s_movk_i32 s0, 0x4f
	v_mul_lo_u16_sdwa v0, v98, s0 dst_sel:DWORD dst_unused:UNUSED_PAD src0_sel:BYTE_0 src1_sel:DWORD
	v_lshrrev_b16_e32 v9, 10, v0
	v_mul_lo_u16_e32 v0, 13, v9
	v_sub_u16_e32 v7, v98, v0
	v_mov_b32_e32 v14, 5
	v_lshlrev_b32_sdwa v0, v14, v7 dst_sel:DWORD dst_unused:UNUSED_PAD src0_sel:DWORD src1_sel:BYTE_0
	s_waitcnt lgkmcnt(0)
	s_barrier
	global_load_dwordx4 v[10:13], v0, s[8:9]
	global_load_dwordx4 v[44:47], v0, s[8:9] offset:16
	v_mul_lo_u16_sdwa v0, v76, s0 dst_sel:DWORD dst_unused:UNUSED_PAD src0_sel:BYTE_0 src1_sel:DWORD
	v_lshrrev_b16_e32 v50, 10, v0
	v_mul_lo_u16_e32 v0, 13, v50
	v_sub_u16_e32 v43, v76, v0
	v_lshlrev_b32_sdwa v0, v14, v43 dst_sel:DWORD dst_unused:UNUSED_PAD src0_sel:DWORD src1_sel:BYTE_0
	v_add_u32_e32 v51, 0x4e, v98
	global_load_dwordx4 v[54:57], v0, s[8:9]
	global_load_dwordx4 v[58:61], v0, s[8:9] offset:16
	v_mul_lo_u16_sdwa v0, v51, s0 dst_sel:DWORD dst_unused:UNUSED_PAD src0_sel:BYTE_0 src1_sel:DWORD
	v_lshrrev_b16_e32 v134, 10, v0
	v_mul_lo_u16_e32 v0, 13, v134
	v_sub_u16_e32 v64, v51, v0
	v_lshlrev_b32_sdwa v0, v14, v64 dst_sel:DWORD dst_unused:UNUSED_PAD src0_sel:DWORD src1_sel:BYTE_0
	v_add_u32_e32 v52, 0x75, v98
	global_load_dwordx4 v[94:97], v0, s[8:9]
	global_load_dwordx4 v[100:103], v0, s[8:9] offset:16
	v_mul_lo_u16_sdwa v0, v52, s0 dst_sel:DWORD dst_unused:UNUSED_PAD src0_sel:BYTE_0 src1_sel:DWORD
	v_lshrrev_b16_e32 v135, 10, v0
	v_mul_lo_u16_e32 v0, 13, v135
	v_add_u32_e32 v53, 0x9c, v98
	v_sub_u16_e32 v136, v52, v0
	v_mul_lo_u16_sdwa v15, v53, s0 dst_sel:DWORD dst_unused:UNUSED_PAD src0_sel:BYTE_0 src1_sel:DWORD
	v_lshlrev_b32_sdwa v0, v14, v136 dst_sel:DWORD dst_unused:UNUSED_PAD src0_sel:DWORD src1_sel:BYTE_0
	v_lshrrev_b16_e32 v137, 10, v15
	global_load_dwordx4 v[104:107], v0, s[8:9]
	global_load_dwordx4 v[108:111], v0, s[8:9] offset:16
	v_mul_lo_u16_e32 v15, 13, v137
	v_sub_u16_e32 v138, v53, v15
	v_lshlrev_b32_sdwa v14, v14, v138 dst_sel:DWORD dst_unused:UNUSED_PAD src0_sel:DWORD src1_sel:BYTE_0
	ds_read_b32 v42, v77
	ds_read2_b32 v[0:1], v78 offset0:195 offset1:234
	ds_read2_b32 v[120:121], v8 offset0:95 offset1:134
	;; [unrolled: 1-line block ×3, first 2 shown]
	global_load_dwordx4 v[112:115], v14, s[8:9] offset:16
	global_load_dwordx4 v[116:119], v14, s[8:9]
	ds_read2_b32 v[122:123], v82 offset0:101 offset1:140
	ds_read2_b32 v[16:17], v78 offset0:39 offset1:78
	;; [unrolled: 1-line block ×9, first 2 shown]
	v_mov_b32_e32 v139, 2
	v_lshlrev_b32_sdwa v140, v139, v7 dst_sel:DWORD dst_unused:UNUSED_PAD src0_sel:DWORD src1_sel:BYTE_0
	v_lshlrev_b32_sdwa v141, v139, v43 dst_sel:DWORD dst_unused:UNUSED_PAD src0_sel:DWORD src1_sel:BYTE_0
	s_mov_b32 s0, 0x3e9e377a
	s_mov_b32 s1, 0x3f167918
	s_waitcnt lgkmcnt(0)
	s_barrier
	s_waitcnt vmcnt(9)
	v_mul_f32_e32 v73, v38, v11
	v_mul_f32_e32 v7, v0, v11
	v_fmac_f32_e32 v73, v0, v10
	v_mul_f32_e32 v11, v121, v13
	v_mul_f32_e32 v74, v25, v13
	s_waitcnt vmcnt(8)
	v_mul_f32_e32 v13, v48, v45
	v_mul_f32_e32 v75, v40, v45
	s_waitcnt vmcnt(7)
	v_mul_f32_e32 v45, v1, v55
	v_mul_f32_e32 v65, v39, v55
	v_fma_f32 v86, v39, v54, -v45
	v_fmac_f32_e32 v65, v1, v54
	s_waitcnt vmcnt(6)
	v_mul_f32_e32 v55, v49, v59
	v_mul_f32_e32 v67, v41, v59
	;; [unrolled: 1-line block ×3, first 2 shown]
	s_waitcnt vmcnt(5)
	v_mul_f32_e32 v0, v126, v95
	v_fma_f32 v68, v32, v94, -v0
	v_mul_f32_e32 v0, v63, v97
	v_fma_f32 v69, v37, v96, -v0
	s_waitcnt vmcnt(4)
	v_mul_f32_e32 v0, v128, v101
	v_fma_f32 v70, v30, v100, -v0
	v_mul_f32_e32 v0, v125, v103
	v_fma_f32 v72, v35, v102, -v0
	v_mul_f32_e32 v85, v23, v47
	s_waitcnt vmcnt(3)
	v_mul_f32_e32 v0, v127, v105
	v_fma_f32 v54, v33, v104, -v0
	v_mul_f32_e32 v0, v130, v107
	v_fma_f32 v59, v28, v106, -v0
	s_waitcnt vmcnt(2)
	v_mul_f32_e32 v0, v129, v109
	v_mul_f32_e32 v47, v62, v57
	;; [unrolled: 1-line block ×5, first 2 shown]
	v_fma_f32 v61, v31, v108, -v0
	v_mul_f32_e32 v0, v132, v111
	v_fma_f32 v91, v25, v12, -v11
	v_fmac_f32_e32 v74, v121, v12
	v_lshlrev_b32_sdwa v12, v139, v64 dst_sel:DWORD dst_unused:UNUSED_PAD src0_sel:DWORD src1_sel:BYTE_0
	v_fma_f32 v64, v26, v110, -v0
	s_waitcnt vmcnt(0)
	v_mul_f32_e32 v0, v120, v117
	v_fma_f32 v90, v38, v10, -v7
	v_fma_f32 v38, v24, v116, -v0
	v_mul_f32_e32 v0, v131, v119
	v_fma_f32 v92, v40, v44, -v13
	v_fma_f32 v40, v29, v118, -v0
	;; [unrolled: 3-line block ×4, first 2 shown]
	v_add_f32_e32 v0, v84, v90
	v_add_f32_e32 v0, v0, v91
	v_fma_f32 v93, v23, v46, -v43
	v_add_f32_e32 v0, v0, v92
	v_fmac_f32_e32 v85, v123, v46
	v_mul_f32_e32 v43, v24, v117
	v_add_f32_e32 v24, v0, v93
	v_add_f32_e32 v0, v91, v92
	v_fmac_f32_e32 v75, v48, v44
	v_mul_f32_e32 v46, v28, v107
	v_fma_f32 v28, -0.5, v0, v84
	v_sub_f32_e32 v0, v73, v85
	v_mul_f32_e32 v41, v29, v119
	v_fmamk_f32 v29, v0, 0x3f737871, v28
	v_sub_f32_e32 v1, v74, v75
	v_sub_f32_e32 v7, v90, v91
	;; [unrolled: 1-line block ×3, first 2 shown]
	v_fmac_f32_e32 v28, 0xbf737871, v0
	v_fmac_f32_e32 v29, 0x3f167918, v1
	v_add_f32_e32 v7, v7, v10
	v_fmac_f32_e32 v28, 0xbf167918, v1
	v_fmac_f32_e32 v29, 0x3e9e377a, v7
	;; [unrolled: 1-line block ×3, first 2 shown]
	v_add_f32_e32 v7, v90, v93
	v_fmac_f32_e32 v84, -0.5, v7
	v_fmac_f32_e32 v66, v62, v56
	v_mul_f32_e32 v62, v30, v101
	v_fmamk_f32 v30, v1, 0xbf737871, v84
	v_fmac_f32_e32 v84, 0x3f737871, v1
	v_fmac_f32_e32 v30, 0x3f167918, v0
	;; [unrolled: 1-line block ×3, first 2 shown]
	v_add_f32_e32 v0, v20, v86
	v_add_f32_e32 v0, v0, v87
	v_fma_f32 v89, v34, v60, -v57
	v_add_f32_e32 v0, v0, v88
	v_fmac_f32_e32 v71, v124, v60
	v_mul_f32_e32 v48, v31, v109
	v_sub_f32_e32 v7, v91, v90
	v_sub_f32_e32 v10, v92, v93
	v_add_f32_e32 v31, v0, v89
	v_add_f32_e32 v0, v87, v88
	v_fmac_f32_e32 v67, v49, v58
	v_mul_f32_e32 v58, v32, v95
	v_add_f32_e32 v7, v7, v10
	v_fma_f32 v32, -0.5, v0, v20
	v_sub_f32_e32 v0, v65, v71
	v_mul_f32_e32 v45, v33, v105
	v_fmac_f32_e32 v30, 0x3e9e377a, v7
	v_fmac_f32_e32 v84, 0x3e9e377a, v7
	v_fmamk_f32 v33, v0, 0x3f737871, v32
	v_sub_f32_e32 v1, v66, v67
	v_sub_f32_e32 v7, v86, v87
	;; [unrolled: 1-line block ×3, first 2 shown]
	v_fmac_f32_e32 v32, 0xbf737871, v0
	v_fmac_f32_e32 v33, 0x3f167918, v1
	v_add_f32_e32 v7, v7, v10
	v_fmac_f32_e32 v32, 0xbf167918, v1
	v_fmac_f32_e32 v33, 0x3e9e377a, v7
	;; [unrolled: 1-line block ×3, first 2 shown]
	v_add_f32_e32 v7, v86, v89
	v_fma_f32 v20, -0.5, v7, v20
	v_fmamk_f32 v34, v1, 0xbf737871, v20
	v_fmac_f32_e32 v20, 0x3f737871, v1
	v_fmac_f32_e32 v34, 0x3f167918, v0
	;; [unrolled: 1-line block ×3, first 2 shown]
	v_add_f32_e32 v0, v21, v68
	v_mul_f32_e32 v60, v37, v97
	v_add_f32_e32 v0, v0, v69
	v_fmac_f32_e32 v60, v63, v96
	v_mul_f32_e32 v63, v35, v103
	v_add_f32_e32 v0, v0, v70
	v_fmac_f32_e32 v58, v126, v94
	v_fmac_f32_e32 v63, v125, v102
	v_sub_f32_e32 v7, v87, v86
	v_sub_f32_e32 v10, v88, v89
	v_add_f32_e32 v35, v0, v72
	v_add_f32_e32 v0, v69, v70
	v_fmac_f32_e32 v62, v128, v100
	v_add_f32_e32 v7, v7, v10
	v_fma_f32 v36, -0.5, v0, v21
	v_sub_f32_e32 v0, v58, v63
	v_fmac_f32_e32 v34, 0x3e9e377a, v7
	v_fmac_f32_e32 v20, 0x3e9e377a, v7
	v_fmamk_f32 v37, v0, 0x3f737871, v36
	v_sub_f32_e32 v1, v60, v62
	v_sub_f32_e32 v7, v68, v69
	;; [unrolled: 1-line block ×3, first 2 shown]
	v_fmac_f32_e32 v36, 0xbf737871, v0
	v_fmac_f32_e32 v37, 0x3f167918, v1
	v_add_f32_e32 v7, v7, v10
	v_fmac_f32_e32 v36, 0xbf167918, v1
	v_fmac_f32_e32 v37, 0x3e9e377a, v7
	;; [unrolled: 1-line block ×3, first 2 shown]
	v_add_f32_e32 v7, v68, v72
	v_fmac_f32_e32 v21, -0.5, v7
	v_fmamk_f32 v56, v1, 0xbf737871, v21
	v_fmac_f32_e32 v21, 0x3f737871, v1
	v_fmac_f32_e32 v56, 0x3f167918, v0
	;; [unrolled: 1-line block ×3, first 2 shown]
	v_add_f32_e32 v0, v18, v54
	v_add_f32_e32 v0, v0, v59
	v_mul_f32_e32 v49, v26, v111
	v_add_f32_e32 v0, v0, v61
	v_fmac_f32_e32 v45, v127, v104
	v_fmac_f32_e32 v49, v132, v110
	v_sub_f32_e32 v7, v69, v68
	v_sub_f32_e32 v10, v70, v72
	v_add_f32_e32 v57, v0, v64
	v_add_f32_e32 v0, v59, v61
	v_fmac_f32_e32 v46, v130, v106
	v_fmac_f32_e32 v48, v129, v108
	v_add_f32_e32 v7, v7, v10
	v_fma_f32 v94, -0.5, v0, v18
	v_sub_f32_e32 v0, v45, v49
	v_fmac_f32_e32 v56, 0x3e9e377a, v7
	v_fmac_f32_e32 v21, 0x3e9e377a, v7
	v_fmamk_f32 v95, v0, 0x3f737871, v94
	v_sub_f32_e32 v1, v46, v48
	v_sub_f32_e32 v7, v54, v59
	;; [unrolled: 1-line block ×3, first 2 shown]
	v_fmac_f32_e32 v94, 0xbf737871, v0
	v_fmac_f32_e32 v95, 0x3f167918, v1
	v_add_f32_e32 v7, v7, v10
	v_fmac_f32_e32 v94, 0xbf167918, v1
	v_fmac_f32_e32 v95, 0x3e9e377a, v7
	;; [unrolled: 1-line block ×3, first 2 shown]
	v_add_f32_e32 v7, v54, v64
	v_fma_f32 v96, -0.5, v7, v18
	v_fmamk_f32 v97, v1, 0xbf737871, v96
	v_fmac_f32_e32 v96, 0x3f737871, v1
	v_fmac_f32_e32 v97, 0x3f167918, v0
	v_fmac_f32_e32 v96, 0xbf167918, v0
	v_add_f32_e32 v0, v19, v38
	v_add_f32_e32 v0, v0, v40
	v_sub_f32_e32 v7, v59, v54
	v_sub_f32_e32 v10, v61, v64
	v_add_f32_e32 v0, v0, v47
	v_mul_f32_e32 v39, v131, v118
	v_mul_f32_e32 v23, v22, v113
	v_add_f32_e32 v7, v7, v10
	v_add_f32_e32 v100, v0, v55
	;; [unrolled: 1-line block ×3, first 2 shown]
	v_fmac_f32_e32 v23, v122, v112
	v_mul_f32_e32 v44, v27, v115
	v_fmac_f32_e32 v97, 0x3e9e377a, v7
	v_fmac_f32_e32 v96, 0x3e9e377a, v7
	v_fma_f32 v7, -0.5, v0, v19
	v_sub_f32_e32 v22, v55, v47
	v_pk_add_f32 v[0:1], v[38:39], v[40:41] neg_lo:[0,1] neg_hi:[0,1]
	v_pk_add_f32 v[26:27], v[38:39], v[40:41]
	v_fmac_f32_e32 v43, v120, v116
	v_fmac_f32_e32 v44, v133, v114
	v_pk_add_f32 v[0:1], v[0:1], v[22:23]
	v_pk_add_f32 v[10:11], v[26:27], v[22:23] neg_lo:[0,1] neg_hi:[0,1]
	v_sub_f32_e32 v18, v43, v44
	v_mov_b32_e32 v1, v11
	v_fmamk_f32 v101, v18, 0x3f737871, v7
	v_pk_mul_f32 v[0:1], v[0:1], s[0:1]
	v_fmac_f32_e32 v7, 0xbf737871, v18
	v_add_f32_e32 v10, v1, v101
	v_sub_f32_e32 v1, v7, v1
	v_add_f32_e32 v10, v0, v10
	v_add_f32_e32 v7, v0, v1
	;; [unrolled: 1-line block ×3, first 2 shown]
	v_fmac_f32_e32 v19, -0.5, v0
	v_fmamk_f32 v0, v11, 0xbf737871, v19
	v_sub_f32_e32 v1, v40, v38
	v_sub_f32_e32 v22, v47, v55
	v_fmac_f32_e32 v19, 0x3f737871, v11
	v_fmac_f32_e32 v0, 0x3f167918, v18
	v_add_f32_e32 v1, v1, v22
	v_fmac_f32_e32 v19, 0xbf167918, v18
	s_movk_i32 s0, 0x104
	v_fmac_f32_e32 v0, 0x3e9e377a, v1
	v_fmac_f32_e32 v19, 0x3e9e377a, v1
	v_mad_u32_u24 v1, v9, s0, 0
	v_add3_u32 v18, v1, v140, v79
	v_mad_u32_u24 v1, v50, s0, 0
	v_add3_u32 v22, v1, v141, v79
	v_mad_u32_u24 v1, v134, s0, 0
	v_lshlrev_b32_sdwa v13, v139, v136 dst_sel:DWORD dst_unused:UNUSED_PAD src0_sel:DWORD src1_sel:BYTE_0
	v_add3_u32 v26, v1, v12, v79
	v_mad_u32_u24 v1, v135, s0, 0
	v_lshlrev_b32_sdwa v25, v139, v138 dst_sel:DWORD dst_unused:UNUSED_PAD src0_sel:DWORD src1_sel:BYTE_0
	v_add3_u32 v39, v1, v13, v79
	v_mad_u32_u24 v1, v137, s0, 0
	v_add3_u32 v41, v1, v25, v79
	ds_write2_b32 v18, v24, v29 offset1:13
	ds_write2_b32 v18, v30, v84 offset0:26 offset1:39
	ds_write_b32 v18, v28 offset:208
	ds_write2_b32 v22, v31, v33 offset1:13
	ds_write2_b32 v22, v34, v20 offset0:26 offset1:39
	ds_write_b32 v22, v32 offset:208
	;; [unrolled: 3-line block ×5, first 2 shown]
	s_waitcnt lgkmcnt(0)
	s_barrier
	ds_read2_b32 v[0:1], v8 offset0:17 offset1:69
	ds_read2_b32 v[20:21], v81 offset0:86 offset1:138
	;; [unrolled: 1-line block ×11, first 2 shown]
	ds_read_b32 v50, v77
	ds_read_b32 v57, v78 offset:3692
	v_cmp_gt_u32_e64 s[0:1], 13, v98
                                        ; implicit-def: $vgpr56
	s_and_saveexec_b64 s[2:3], s[0:1]
	s_cbranch_execz .LBB0_20
; %bb.19:
	ds_read_b32 v7, v78 offset:1248
	ds_read_b32 v99, v78 offset:2548
	ds_read_b32 v56, v78 offset:3848
.LBB0_20:
	s_or_b64 exec, exec, s[2:3]
	v_add_f32_e32 v81, v74, v75
	v_fma_f32 v81, -0.5, v81, v42
	v_sub_f32_e32 v82, v90, v93
	v_fmamk_f32 v83, v82, 0xbf737871, v81
	v_sub_f32_e32 v84, v91, v92
	v_sub_f32_e32 v90, v73, v74
	;; [unrolled: 1-line block ×3, first 2 shown]
	v_fmac_f32_e32 v81, 0x3f737871, v82
	v_add_f32_e32 v19, v42, v73
	v_fmac_f32_e32 v83, 0xbf167918, v84
	v_add_f32_e32 v90, v90, v91
	;; [unrolled: 2-line block ×3, first 2 shown]
	v_fmac_f32_e32 v83, 0x3e9e377a, v90
	v_fmac_f32_e32 v81, 0x3e9e377a, v90
	v_add_f32_e32 v90, v73, v85
	v_sub_f32_e32 v73, v74, v73
	v_sub_f32_e32 v74, v75, v85
	v_fmac_f32_e32 v42, -0.5, v90
	v_add_f32_e32 v73, v73, v74
	v_add_f32_e32 v74, v66, v67
	;; [unrolled: 1-line block ×3, first 2 shown]
	v_fmamk_f32 v90, v84, 0x3f737871, v42
	v_fmac_f32_e32 v42, 0xbf737871, v84
	v_fma_f32 v74, -0.5, v74, v16
	v_sub_f32_e32 v75, v86, v89
	v_add_f32_e32 v19, v19, v85
	v_fmac_f32_e32 v90, 0xbf167918, v82
	v_fmac_f32_e32 v42, 0x3f167918, v82
	v_fmamk_f32 v82, v75, 0xbf737871, v74
	v_sub_f32_e32 v84, v87, v88
	v_sub_f32_e32 v85, v65, v66
	;; [unrolled: 1-line block ×3, first 2 shown]
	v_fmac_f32_e32 v74, 0x3f737871, v75
	v_fmac_f32_e32 v90, 0x3e9e377a, v73
	;; [unrolled: 1-line block ×3, first 2 shown]
	v_add_f32_e32 v73, v16, v65
	v_fmac_f32_e32 v82, 0xbf167918, v84
	v_add_f32_e32 v85, v85, v86
	v_fmac_f32_e32 v74, 0x3f167918, v84
	;; [unrolled: 2-line block ×3, first 2 shown]
	v_fmac_f32_e32 v74, 0x3e9e377a, v85
	v_add_f32_e32 v85, v65, v71
	v_sub_f32_e32 v65, v66, v65
	v_sub_f32_e32 v66, v67, v71
	v_fma_f32 v16, -0.5, v85, v16
	v_add_f32_e32 v65, v65, v66
	v_add_f32_e32 v66, v60, v62
	;; [unrolled: 1-line block ×3, first 2 shown]
	v_fmamk_f32 v85, v84, 0x3f737871, v16
	v_fmac_f32_e32 v16, 0xbf737871, v84
	v_fma_f32 v66, -0.5, v66, v17
	v_sub_f32_e32 v67, v68, v72
	v_add_f32_e32 v73, v73, v71
	v_fmac_f32_e32 v85, 0xbf167918, v75
	v_fmac_f32_e32 v16, 0x3f167918, v75
	v_fmamk_f32 v68, v67, 0xbf737871, v66
	v_sub_f32_e32 v69, v69, v70
	v_sub_f32_e32 v70, v58, v60
	;; [unrolled: 1-line block ×3, first 2 shown]
	v_fmac_f32_e32 v66, 0x3f737871, v67
	v_fmac_f32_e32 v85, 0x3e9e377a, v65
	;; [unrolled: 1-line block ×3, first 2 shown]
	v_add_f32_e32 v65, v17, v58
	v_fmac_f32_e32 v68, 0xbf167918, v69
	v_add_f32_e32 v70, v70, v71
	v_fmac_f32_e32 v66, 0x3f167918, v69
	;; [unrolled: 2-line block ×3, first 2 shown]
	v_fmac_f32_e32 v66, 0x3e9e377a, v70
	v_add_f32_e32 v70, v58, v63
	v_sub_f32_e32 v58, v60, v58
	v_sub_f32_e32 v60, v62, v63
	v_add_f32_e32 v58, v58, v60
	v_add_f32_e32 v60, v46, v48
	;; [unrolled: 1-line block ×3, first 2 shown]
	v_fmac_f32_e32 v17, -0.5, v70
	v_fma_f32 v60, -0.5, v60, v14
	v_sub_f32_e32 v54, v54, v64
	v_add_f32_e32 v65, v65, v63
	v_fmamk_f32 v70, v69, 0x3f737871, v17
	v_fmac_f32_e32 v17, 0xbf737871, v69
	v_fmamk_f32 v62, v54, 0xbf737871, v60
	v_sub_f32_e32 v59, v59, v61
	v_sub_f32_e32 v61, v45, v46
	;; [unrolled: 1-line block ×3, first 2 shown]
	v_fmac_f32_e32 v60, 0x3f737871, v54
	v_fmac_f32_e32 v70, 0xbf167918, v67
	;; [unrolled: 1-line block ×4, first 2 shown]
	v_add_f32_e32 v61, v61, v63
	v_fmac_f32_e32 v60, 0x3f167918, v59
	v_fmac_f32_e32 v70, 0x3e9e377a, v58
	;; [unrolled: 1-line block ×3, first 2 shown]
	v_add_f32_e32 v58, v14, v45
	v_fmac_f32_e32 v62, 0x3e9e377a, v61
	v_fmac_f32_e32 v60, 0x3e9e377a, v61
	v_add_f32_e32 v61, v45, v49
	v_add_f32_e32 v58, v58, v46
	v_fma_f32 v14, -0.5, v61, v14
	v_sub_f32_e32 v45, v46, v45
	v_sub_f32_e32 v46, v48, v49
	v_fmamk_f32 v61, v59, 0x3f737871, v14
	v_add_f32_e32 v45, v45, v46
	v_fmac_f32_e32 v14, 0xbf737871, v59
	v_add_f32_e32 v46, v27, v23
	v_fmac_f32_e32 v61, 0xbf167918, v54
	v_fmac_f32_e32 v14, 0x3f167918, v54
	v_fma_f32 v54, -0.5, v46, v15
	v_sub_f32_e32 v38, v38, v55
	v_add_f32_e32 v58, v58, v48
	v_fmamk_f32 v46, v38, 0xbf737871, v54
	v_sub_f32_e32 v40, v40, v47
	v_sub_f32_e32 v47, v43, v27
	;; [unrolled: 1-line block ×3, first 2 shown]
	v_fmac_f32_e32 v54, 0x3f737871, v38
	v_fmac_f32_e32 v46, 0xbf167918, v40
	v_add_f32_e32 v47, v47, v48
	v_fmac_f32_e32 v54, 0x3f167918, v40
	v_fmac_f32_e32 v61, 0x3e9e377a, v45
	;; [unrolled: 1-line block ×3, first 2 shown]
	v_add_f32_e32 v45, v15, v43
	v_fmac_f32_e32 v46, 0x3e9e377a, v47
	v_fmac_f32_e32 v54, 0x3e9e377a, v47
	v_add_f32_e32 v47, v43, v44
	v_add_f32_e32 v45, v45, v27
	v_fmac_f32_e32 v15, -0.5, v47
	v_add_f32_e32 v45, v45, v23
	v_fmamk_f32 v47, v40, 0x3f737871, v15
	v_sub_f32_e32 v27, v27, v43
	v_sub_f32_e32 v23, v23, v44
	v_fmac_f32_e32 v15, 0xbf737871, v40
	v_fmac_f32_e32 v47, 0xbf167918, v38
	v_add_f32_e32 v23, v27, v23
	v_fmac_f32_e32 v15, 0x3f167918, v38
	v_add_f32_e32 v58, v58, v49
	v_add_f32_e32 v45, v45, v44
	v_fmac_f32_e32 v47, 0x3e9e377a, v23
	v_fmac_f32_e32 v15, 0x3e9e377a, v23
	s_waitcnt lgkmcnt(0)
	s_barrier
	ds_write2_b32 v18, v19, v83 offset1:13
	ds_write2_b32 v18, v90, v42 offset0:26 offset1:39
	ds_write_b32 v18, v81 offset:208
	ds_write2_b32 v22, v73, v82 offset1:13
	ds_write2_b32 v22, v85, v16 offset0:26 offset1:39
	ds_write_b32 v22, v74 offset:208
	;; [unrolled: 3-line block ×5, first 2 shown]
	v_add_u32_e32 v18, 0x400, v78
	v_add_u32_e32 v38, 0x800, v78
	s_waitcnt lgkmcnt(0)
	s_barrier
	ds_read2_b32 v[16:17], v18 offset0:17 offset1:69
	ds_read2_b32 v[14:15], v38 offset0:86 offset1:138
	;; [unrolled: 1-line block ×7, first 2 shown]
	v_add_u32_e32 v18, 0xa00, v78
	ds_read2_b32 v[42:43], v18 offset0:127 offset1:166
	ds_read2_b32 v[18:19], v78 offset0:195 offset1:234
	;; [unrolled: 1-line block ×3, first 2 shown]
	v_add_u32_e32 v38, 0xc00, v78
	ds_read2_b32 v[38:39], v38 offset0:77 offset1:116
	ds_read_b32 v55, v77
	ds_read_b32 v59, v78 offset:3692
                                        ; implicit-def: $vgpr58
	s_and_saveexec_b64 s[2:3], s[0:1]
	s_cbranch_execz .LBB0_22
; %bb.21:
	ds_read_b32 v54, v78 offset:1248
	ds_read_b32 v80, v78 offset:2548
	;; [unrolled: 1-line block ×3, first 2 shown]
.LBB0_22:
	s_or_b64 exec, exec, s[2:3]
	v_lshlrev_b32_e32 v60, 1, v98
	v_mov_b32_e32 v61, 0
	v_subrev_u32_e32 v66, 26, v98
	v_cmp_gt_u32_e64 s[2:3], 26, v98
	v_lshl_add_u64 v[62:63], v[60:61], 3, s[8:9]
	v_add_u32_e32 v60, 26, v60
	v_cndmask_b32_e64 v74, v66, v76, s[2:3]
	v_lshl_add_u64 v[66:67], v[60:61], 3, s[8:9]
	v_lshlrev_b32_e32 v60, 1, v74
	v_lshl_add_u64 v[60:61], v[60:61], 3, s[8:9]
	s_movk_i32 s2, 0xfd
	global_load_dwordx4 v[70:73], v[60:61], off offset:416
	v_mul_lo_u16_sdwa v61, v52, s2 dst_sel:DWORD dst_unused:UNUSED_PAD src0_sel:BYTE_0 src1_sel:DWORD
	v_lshrrev_b16_e32 v75, 14, v61
	v_mul_lo_u16_e32 v61, 0x41, v75
	v_mov_b32_e32 v60, 4
	v_sub_u16_e32 v81, v52, v61
	v_lshlrev_b32_sdwa v61, v60, v81 dst_sel:DWORD dst_unused:UNUSED_PAD src0_sel:DWORD src1_sel:BYTE_0
	global_load_dwordx4 v[82:85], v61, s[8:9] offset:416
	v_mul_lo_u16_sdwa v61, v53, s2 dst_sel:DWORD dst_unused:UNUSED_PAD src0_sel:BYTE_0 src1_sel:DWORD
	v_lshrrev_b16_e32 v61, 14, v61
	v_mul_lo_u16_e32 v61, 0x41, v61
	v_sub_u16_e32 v108, v53, v61
	v_lshlrev_b32_sdwa v61, v60, v108 dst_sel:DWORD dst_unused:UNUSED_PAD src0_sel:DWORD src1_sel:BYTE_0
	global_load_dwordx4 v[86:89], v61, s[8:9] offset:416
	v_add_u16_e32 v61, 0xc3, v98
	v_mul_lo_u16_sdwa v90, v61, s2 dst_sel:DWORD dst_unused:UNUSED_PAD src0_sel:BYTE_0 src1_sel:DWORD
	v_lshrrev_b16_e32 v90, 14, v90
	v_mul_lo_u16_e32 v90, 0x41, v90
	v_sub_u16_e32 v109, v61, v90
	v_lshlrev_b32_sdwa v60, v60, v109 dst_sel:DWORD dst_unused:UNUSED_PAD src0_sel:DWORD src1_sel:BYTE_0
	global_load_dwordx4 v[62:65], v[62:63], off offset:416
	s_movk_i32 s2, 0xfc1
	global_load_dwordx4 v[90:93], v60, s[8:9] offset:416
	v_add_u32_e32 v60, 0xea, v98
	v_mul_u32_u24_sdwa v61, v60, s2 dst_sel:DWORD dst_unused:UNUSED_PAD src0_sel:WORD_0 src1_sel:DWORD
	v_lshrrev_b32_e32 v110, 18, v61
	v_mul_lo_u16_e32 v61, 0x41, v110
	v_sub_u16_e32 v111, v60, v61
	v_lshlrev_b32_e32 v60, 4, v111
	global_load_dwordx4 v[66:69], v[66:67], off offset:416
	s_movk_i32 s4, 0x30c
	global_load_dwordx4 v[94:97], v60, s[8:9] offset:416
	v_add_u32_e32 v60, 0x111, v98
	v_mul_u32_u24_sdwa v61, v60, s2 dst_sel:DWORD dst_unused:UNUSED_PAD src0_sel:WORD_0 src1_sel:DWORD
	v_lshrrev_b32_e32 v61, 18, v61
	v_mul_lo_u16_e32 v61, 0x41, v61
	v_sub_u16_e32 v112, v60, v61
	v_lshlrev_b32_e32 v60, 4, v112
	global_load_dwordx4 v[100:103], v60, s[8:9] offset:416
	v_add_u32_e32 v60, 0x138, v98
	v_mul_u32_u24_sdwa v61, v60, s2 dst_sel:DWORD dst_unused:UNUSED_PAD src0_sel:WORD_0 src1_sel:DWORD
	v_lshrrev_b32_e32 v61, 18, v61
	v_mul_lo_u16_e32 v61, 0x41, v61
	v_sub_u16_e32 v113, v60, v61
	v_lshlrev_b32_e32 v60, 4, v113
	global_load_dwordx4 v[104:107], v60, s[8:9] offset:416
	s_waitcnt lgkmcnt(0)
	s_barrier
	v_cmp_lt_u32_e64 s[2:3], 25, v98
	s_waitcnt vmcnt(5)
	v_mul_f32_e32 v61, v1, v63
	v_mul_f32_e32 v60, v17, v63
	;; [unrolled: 1-line block ×3, first 2 shown]
	v_fmac_f32_e32 v61, v17, v62
	v_mul_f32_e32 v63, v21, v65
	v_fma_f32 v60, v1, v62, -v60
	v_fma_f32 v62, v21, v64, -v114
	v_mul_f32_e32 v65, v34, v73
	v_fmac_f32_e32 v63, v15, v64
	s_waitcnt vmcnt(3)
	v_mul_f32_e32 v17, v49, v67
	v_mul_f32_e32 v1, v37, v67
	v_mul_f32_e32 v21, v47, v69
	v_fma_f32 v37, v37, v66, -v17
	v_mul_f32_e32 v17, v44, v83
	v_mul_f32_e32 v15, v35, v69
	;; [unrolled: 1-line block ×5, first 2 shown]
	v_fma_f32 v35, v35, v68, -v21
	v_fmac_f32_e32 v65, v46, v72
	v_mul_f32_e32 v21, v42, v85
	v_fma_f32 v46, v32, v82, -v17
	v_mul_f32_e32 v17, v45, v87
	v_fmac_f32_e32 v1, v49, v66
	v_fmac_f32_e32 v15, v47, v68
	v_fma_f32 v49, v36, v70, -v67
	v_fmac_f32_e32 v64, v48, v70
	v_mul_f32_e32 v36, v32, v83
	v_mul_f32_e32 v47, v30, v85
	v_fma_f32 v48, v30, v84, -v21
	v_fma_f32 v30, v33, v86, -v17
	v_mul_f32_e32 v17, v43, v89
	v_fmac_f32_e32 v36, v44, v82
	v_fmac_f32_e32 v47, v42, v84
	v_mul_f32_e32 v42, v33, v87
	v_fma_f32 v44, v31, v88, -v17
	v_mul_f32_e32 v17, v40, v91
	v_fmac_f32_e32 v42, v45, v86
	v_mul_f32_e32 v45, v31, v89
	v_fma_f32 v31, v28, v90, -v17
	v_mul_f32_e32 v28, v28, v91
	v_mul_f32_e32 v17, v38, v93
	v_fmac_f32_e32 v28, v40, v90
	v_fma_f32 v40, v24, v92, -v17
	s_waitcnt vmcnt(2)
	v_mul_f32_e32 v17, v41, v95
	v_fmac_f32_e32 v45, v43, v88
	v_mul_f32_e32 v43, v24, v93
	v_fma_f32 v24, v29, v94, -v17
	v_mul_f32_e32 v17, v39, v97
	v_fmac_f32_e32 v43, v38, v92
	v_mul_f32_e32 v29, v29, v95
	v_fma_f32 v38, v25, v96, -v17
	s_waitcnt vmcnt(1)
	v_mul_f32_e32 v17, v14, v101
	s_waitcnt vmcnt(0)
	v_mul_f32_e32 v33, v58, v107
	v_fma_f32 v66, v34, v72, -v69
	v_fmac_f32_e32 v29, v41, v94
	v_mul_f32_e32 v41, v25, v97
	v_fma_f32 v21, v20, v100, -v17
	v_mul_f32_e32 v20, v20, v101
	v_fma_f32 v33, v56, v106, -v33
	v_mul_f32_e32 v34, v56, v107
	v_add_f32_e32 v56, v60, v62
	v_fmac_f32_e32 v41, v39, v96
	v_fmac_f32_e32 v20, v14, v100
	v_mul_f32_e32 v14, v59, v103
	v_add_f32_e32 v39, v50, v60
	v_fmac_f32_e32 v50, -0.5, v56
	v_sub_f32_e32 v56, v61, v63
	v_fma_f32 v14, v57, v102, -v14
	v_mul_f32_e32 v25, v57, v103
	v_add_f32_e32 v39, v39, v62
	v_fmamk_f32 v57, v56, 0x3f5db3d7, v50
	v_fmac_f32_e32 v50, 0xbf5db3d7, v56
	ds_write2_b32 v78, v39, v57 offset1:65
	ds_write_b32 v78, v50 offset:520
	v_mov_b32_e32 v39, 0x30c
	v_fmac_f32_e32 v34, v58, v106
	v_add_f32_e32 v58, v49, v66
	v_cndmask_b32_e64 v39, 0, v39, s[2:3]
	v_add_f32_e32 v56, v12, v49
	v_fma_f32 v12, -0.5, v58, v12
	v_sub_f32_e32 v58, v64, v65
	v_add_f32_e32 v67, v37, v35
	v_add_u32_e32 v39, 0, v39
	v_lshlrev_b32_e32 v50, 2, v74
	v_fmac_f32_e32 v25, v59, v102
	v_add_f32_e32 v56, v56, v66
	v_fmamk_f32 v59, v58, 0x3f5db3d7, v12
	v_fmac_f32_e32 v12, 0xbf5db3d7, v58
	v_add_f32_e32 v58, v13, v37
	v_fmac_f32_e32 v13, -0.5, v67
	v_sub_f32_e32 v67, v1, v15
	v_add3_u32 v39, v39, v50, v79
	v_add_f32_e32 v58, v58, v35
	v_fmamk_f32 v68, v67, 0x3f5db3d7, v13
	v_fmac_f32_e32 v13, 0xbf5db3d7, v67
	ds_write2_b32 v39, v56, v59 offset1:65
	ds_write_b32 v39, v12 offset:520
	v_add_u32_e32 v12, 0x200, v78
	v_add_f32_e32 v69, v46, v48
	ds_write2_b32 v12, v58, v68 offset0:80 offset1:145
	ds_write_b32 v78, v13 offset:1352
	v_mov_b32_e32 v13, 2
	v_add_f32_e32 v67, v10, v46
	v_fma_f32 v10, -0.5, v69, v10
	v_sub_f32_e32 v69, v36, v47
	v_mad_u32_u24 v12, v75, s4, 0
	v_lshlrev_b32_sdwa v50, v13, v81 dst_sel:DWORD dst_unused:UNUSED_PAD src0_sel:DWORD src1_sel:BYTE_0
	v_add_f32_e32 v67, v67, v48
	v_fmamk_f32 v70, v69, 0x3f5db3d7, v10
	v_fmac_f32_e32 v10, 0xbf5db3d7, v69
	v_add3_u32 v58, v12, v50, v79
	v_add_f32_e32 v71, v30, v44
	ds_write2_b32 v58, v67, v70 offset1:65
	ds_write_b32 v58, v10 offset:520
	v_lshlrev_b32_sdwa v10, v13, v108 dst_sel:DWORD dst_unused:UNUSED_PAD src0_sel:DWORD src1_sel:BYTE_0
	v_add_f32_e32 v69, v11, v30
	v_fmac_f32_e32 v11, -0.5, v71
	v_sub_f32_e32 v71, v42, v45
	v_add3_u32 v59, 0, v10, v79
	v_add_f32_e32 v69, v69, v44
	v_fmamk_f32 v72, v71, 0x3f5db3d7, v11
	v_add_u32_e32 v10, 0x400, v59
	v_fmac_f32_e32 v11, 0xbf5db3d7, v71
	v_add_f32_e32 v73, v31, v40
	ds_write2_b32 v10, v69, v72 offset0:134 offset1:199
	ds_write_b32 v59, v11 offset:2080
	v_lshlrev_b32_sdwa v10, v13, v109 dst_sel:DWORD dst_unused:UNUSED_PAD src0_sel:DWORD src1_sel:BYTE_0
	v_mul_f32_e32 v32, v99, v105
	v_add_f32_e32 v71, v8, v31
	v_fma_f32 v8, -0.5, v73, v8
	v_sub_f32_e32 v73, v28, v43
	v_add3_u32 v67, 0, v10, v79
	v_mul_f32_e32 v17, v80, v105
	v_fmac_f32_e32 v32, v80, v104
	v_add_f32_e32 v71, v71, v40
	v_fmamk_f32 v80, v73, 0x3f5db3d7, v8
	v_fmac_f32_e32 v8, 0xbf5db3d7, v73
	v_add_u32_e32 v10, 0x800, v67
	v_add_f32_e32 v82, v24, v38
	ds_write2_b32 v10, v71, v80 offset0:73 offset1:138
	ds_write_b32 v67, v8 offset:2860
	v_mad_u32_u24 v8, v110, s4, 0
	v_lshlrev_b32_e32 v10, 2, v111
	v_add_f32_e32 v73, v9, v24
	v_fmac_f32_e32 v9, -0.5, v82
	v_sub_f32_e32 v82, v29, v41
	v_add_f32_e32 v84, v21, v14
	v_add3_u32 v68, v8, v10, v79
	v_lshlrev_b32_e32 v8, 2, v112
	v_fmamk_f32 v83, v82, 0x3f5db3d7, v9
	v_fmac_f32_e32 v9, 0xbf5db3d7, v82
	v_add_f32_e32 v82, v0, v21
	v_fmac_f32_e32 v0, -0.5, v84
	v_sub_f32_e32 v84, v20, v25
	v_add3_u32 v69, 0, v8, v79
	v_fma_f32 v17, v99, v104, -v17
	v_add_f32_e32 v73, v73, v38
	v_add_f32_e32 v82, v82, v14
	v_fmamk_f32 v85, v84, 0x3f5db3d7, v0
	v_add_u32_e32 v56, 52, v78
	v_add_u32_e32 v8, 0xc00, v69
	v_lshlrev_b32_e32 v57, 2, v113
	v_fmac_f32_e32 v0, 0xbf5db3d7, v84
	ds_write2_b32 v68, v73, v83 offset1:65
	ds_write_b32 v68, v9 offset:520
	ds_write2_b32 v8, v82, v85 offset0:12 offset1:77
	ds_write_b32 v69, v0 offset:3640
	s_and_saveexec_b64 s[2:3], s[0:1]
	s_cbranch_execz .LBB0_24
; %bb.23:
	v_add_f32_e32 v8, v17, v33
	v_add3_u32 v0, 0, v57, v79
	v_fma_f32 v8, -0.5, v8, v7
	v_sub_f32_e32 v9, v32, v34
	v_add_f32_e32 v7, v7, v17
	v_fmamk_f32 v10, v9, 0xbf5db3d7, v8
	v_fmac_f32_e32 v8, 0x3f5db3d7, v9
	v_add_f32_e32 v7, v7, v33
	v_add_u32_e32 v9, 0xc00, v0
	ds_write2_b32 v9, v7, v8 offset0:12 offset1:77
	ds_write_b32 v0, v10 offset:3640
.LBB0_24:
	s_or_b64 exec, exec, s[2:3]
	v_add_f32_e32 v0, v55, v61
	v_add_f32_e32 v7, v0, v63
	v_add_f32_e32 v0, v61, v63
	v_fmac_f32_e32 v55, -0.5, v0
	v_sub_f32_e32 v0, v60, v62
	v_fmamk_f32 v60, v0, 0xbf5db3d7, v55
	v_fmac_f32_e32 v55, 0x3f5db3d7, v0
	v_add_f32_e32 v0, v26, v64
	v_add_f32_e32 v61, v0, v65
	v_add_f32_e32 v0, v64, v65
	v_fma_f32 v26, -0.5, v0, v26
	v_sub_f32_e32 v0, v49, v66
	v_fmamk_f32 v49, v0, 0xbf5db3d7, v26
	v_fmac_f32_e32 v26, 0x3f5db3d7, v0
	v_add_f32_e32 v0, v27, v1
	v_add_f32_e32 v62, v0, v15
	v_add_f32_e32 v0, v1, v15
	v_fmac_f32_e32 v27, -0.5, v0
	v_sub_f32_e32 v0, v37, v35
	v_fmamk_f32 v35, v0, 0xbf5db3d7, v27
	v_fmac_f32_e32 v27, 0x3f5db3d7, v0
	v_add_f32_e32 v0, v22, v36
	v_add_f32_e32 v63, v0, v47
	v_add_f32_e32 v0, v36, v47
	v_fma_f32 v22, -0.5, v0, v22
	v_sub_f32_e32 v0, v46, v48
	v_fmamk_f32 v46, v0, 0xbf5db3d7, v22
	v_fmac_f32_e32 v22, 0x3f5db3d7, v0
	;; [unrolled: 14-line block ×3, first 2 shown]
	v_add_f32_e32 v0, v19, v29
	v_add_f32_e32 v65, v0, v41
	;; [unrolled: 1-line block ×3, first 2 shown]
	v_fmac_f32_e32 v19, -0.5, v0
	v_sub_f32_e32 v0, v24, v38
	v_fmamk_f32 v38, v0, 0xbf5db3d7, v19
	v_fmac_f32_e32 v19, 0x3f5db3d7, v0
	v_add_f32_e32 v0, v16, v20
	v_add_f32_e32 v41, v0, v25
	v_add_f32_e32 v0, v20, v25
	v_fmac_f32_e32 v16, -0.5, v0
	v_sub_f32_e32 v0, v21, v14
	v_fmamk_f32 v66, v0, 0xbf5db3d7, v16
	v_fmac_f32_e32 v16, 0x3f5db3d7, v0
	v_add_u32_e32 v8, 0x400, v78
	v_add_u32_e32 v9, 0x800, v78
	;; [unrolled: 1-line block ×4, first 2 shown]
	s_waitcnt lgkmcnt(0)
	s_barrier
	ds_read_b32 v50, v77
	ds_read2_b32 v[44:45], v78 offset0:195 offset1:234
	ds_read2_b32 v[10:11], v8 offset0:95 offset1:134
	;; [unrolled: 1-line block ×10, first 2 shown]
	v_add_u32_e32 v13, 0x600, v78
	ds_read2_b32 v[14:15], v13 offset0:123 offset1:162
	ds_read2_b32 v[12:13], v12 offset0:129 offset1:168
	s_waitcnt lgkmcnt(0)
	s_barrier
	ds_write2_b32 v78, v7, v60 offset1:65
	ds_write_b32 v78, v55 offset:520
	ds_write2_b32 v39, v61, v49 offset1:65
	ds_write_b32 v39, v26 offset:520
	v_add_u32_e32 v7, 0x200, v56
	ds_write2_b32 v7, v62, v35 offset0:67 offset1:132
	ds_write_b32 v56, v27 offset:1300
	ds_write2_b32 v58, v63, v46 offset1:65
	ds_write_b32 v58, v22 offset:520
	v_add_u32_e32 v7, 0x400, v59
	ds_write2_b32 v7, v47, v48 offset0:134 offset1:199
	ds_write_b32 v59, v23 offset:2080
	v_add_u32_e32 v7, 0x800, v67
	ds_write2_b32 v7, v64, v40 offset0:73 offset1:138
	ds_write_b32 v67, v18 offset:2860
	ds_write2_b32 v68, v65, v38 offset1:65
	ds_write_b32 v68, v19 offset:520
	v_add_u32_e32 v7, 0xc00, v69
	ds_write2_b32 v7, v41, v66 offset0:12 offset1:77
	ds_write_b32 v69, v16 offset:3640
	s_and_saveexec_b64 s[2:3], s[0:1]
	s_cbranch_execz .LBB0_26
; %bb.25:
	v_add_f32_e32 v16, v32, v34
	v_add_f32_e32 v7, v54, v32
	v_fmac_f32_e32 v54, -0.5, v16
	v_sub_f32_e32 v16, v17, v33
	v_add3_u32 v18, 0, v57, v79
	v_add_f32_e32 v7, v7, v34
	v_fmamk_f32 v17, v16, 0xbf5db3d7, v54
	v_add_u32_e32 v19, 0xc00, v18
	v_fmamk_f32 v16, v16, 0x3f5db3d7, v54
	ds_write2_b32 v19, v7, v17 offset0:12 offset1:77
	ds_write_b32 v18, v16 offset:3640
.LBB0_26:
	s_or_b64 exec, exec, s[2:3]
	s_waitcnt lgkmcnt(0)
	s_barrier
	s_and_saveexec_b64 s[0:1], vcc
	s_cbranch_execz .LBB0_28
; %bb.27:
	v_mul_lo_u32 v7, s11, v4
	v_mul_lo_u32 v5, s10, v5
	v_mad_u64_u32 v[66:67], s[0:1], s10, v4, 0
	v_mov_b32_e32 v55, 0
	v_add3_u32 v67, v67, v5, v7
	v_mov_b32_e32 v7, v55
	v_lshl_add_u64 v[4:5], v[6:7], 3, s[8:9]
	global_load_dwordx4 v[58:61], v[4:5], off offset:1472
	global_load_dwordx4 v[62:65], v[4:5], off offset:1456
	v_lshlrev_b32_e32 v54, 2, v53
	v_lshl_add_u64 v[26:27], v[54:55], 3, s[8:9]
	v_lshlrev_b32_e32 v54, 2, v52
	v_add_u32_e32 v4, 0x600, v78
	v_lshl_add_u64 v[40:41], v[54:55], 3, s[8:9]
	v_lshlrev_b32_e32 v54, 2, v51
	ds_read2_b32 v[18:19], v4 offset0:123 offset1:162
	v_add_u32_e32 v38, 0x400, v78
	v_add_u32_e32 v4, 0xa00, v78
	;; [unrolled: 1-line block ×4, first 2 shown]
	v_lshl_add_u64 v[52:53], v[54:55], 3, s[8:9]
	v_lshlrev_b32_e32 v54, 2, v76
	s_mov_b32 s1, 0x50150151
	ds_read2_b32 v[22:23], v38 offset0:95 offset1:134
	ds_read2_b32 v[6:7], v4 offset0:101 offset1:140
	;; [unrolled: 1-line block ×10, first 2 shown]
	v_lshl_add_u64 v[68:69], v[54:55], 3, s[8:9]
	ds_read2_b32 v[54:55], v70 offset0:73 offset1:112
	ds_read_b32 v51, v77
	v_mul_hi_u32 v70, v98, s1
	v_sub_u32_e32 v71, v98, v70
	v_lshrrev_b32_e32 v71, 1, v71
	v_add_u32_e32 v70, v71, v70
	v_lshrrev_b32_e32 v70, 7, v70
	s_movk_i32 s3, 0xc3
	v_mul_lo_u32 v70, v70, s3
	v_sub_u32_e32 v78, v98, v70
	v_mad_u64_u32 v[70:71], s[4:5], s16, v78, 0
	v_mov_b32_e32 v72, v71
	v_mad_u64_u32 v[72:73], s[4:5], s17, v78, v[72:73]
	v_lshl_add_u64 v[66:67], v[66:67], 3, s[6:7]
	v_mov_b32_e32 v71, v72
	v_lshl_add_u64 v[2:3], v[2:3], 3, v[66:67]
	v_add_u32_e32 v73, 0xc3, v78
	v_lshl_add_u64 v[66:67], v[70:71], 3, v[2:3]
	v_mad_u64_u32 v[70:71], s[4:5], s16, v73, 0
	v_mov_b32_e32 v72, v71
	v_mad_u64_u32 v[72:73], s[4:5], s17, v73, v[72:73]
	v_add_u32_e32 v75, 0x186, v78
	v_mov_b32_e32 v71, v72
	v_mad_u64_u32 v[72:73], s[4:5], s16, v75, 0
	v_mov_b32_e32 v74, v73
	v_mad_u64_u32 v[74:75], s[4:5], s17, v75, v[74:75]
	v_add_u32_e32 v77, 0x249, v78
	v_mov_b32_e32 v73, v74
	;; [unrolled: 5-line block ×3, first 2 shown]
	v_mad_u64_u32 v[76:77], s[4:5], s16, v79, 0
	v_mov_b32_e32 v78, v77
	v_mad_u64_u32 v[78:79], s[4:5], s17, v79, v[78:79]
	s_waitcnt lgkmcnt(11)
	v_mov_b32_e32 v82, v23
	v_mov_b32_e32 v77, v78
	;; [unrolled: 1-line block ×4, first 2 shown]
	s_mov_b32 s2, 0x3f737871
	s_mov_b32 s4, 0x3f167918
	;; [unrolled: 1-line block ×3, first 2 shown]
	v_lshl_add_u64 v[70:71], v[70:71], 3, v[2:3]
	v_lshl_add_u64 v[72:73], v[72:73], 3, v[2:3]
	;; [unrolled: 1-line block ×4, first 2 shown]
	s_waitcnt vmcnt(0)
	v_mov_b32_e32 v84, v65
	v_mov_b32_e32 v85, v64
	v_pk_mul_f32 v[82:83], v[82:83], v[84:85] op_sel_hi:[0,1]
	v_pk_fma_f32 v[78:79], v[78:79], v[64:65], v[82:83] neg_lo:[0,0,1] neg_hi:[0,0,1]
	v_pk_fma_f32 v[64:65], v[80:81], v[64:65], v[82:83] op_sel_hi:[0,1,1]
	v_mov_b32_e32 v79, v65
	s_waitcnt lgkmcnt(1)
	v_pk_mul_f32 v[64:65], v[54:55], v[58:59] op_sel:[0,1] op_sel_hi:[0,0]
	v_pk_fma_f32 v[80:81], v[42:43], v[58:59], v[64:65] neg_lo:[0,0,1] neg_hi:[0,0,1]
	v_pk_fma_f32 v[58:59], v[42:43], v[58:59], v[64:65] op_sel_hi:[0,1,1]
	v_mov_b32_e32 v81, v59
	v_pk_mul_f32 v[58:59], v[56:57], v[62:63] op_sel:[0,1] op_sel_hi:[0,0]
	v_pk_fma_f32 v[82:83], v[44:45], v[62:63], v[58:59] neg_lo:[0,0,1] neg_hi:[0,0,1]
	v_pk_fma_f32 v[58:59], v[44:45], v[62:63], v[58:59] op_sel_hi:[0,1,1]
	v_mov_b32_e32 v83, v59
	v_mov_b32_e32 v54, v7
	;; [unrolled: 1-line block ×6, first 2 shown]
	v_pk_mul_f32 v[58:59], v[54:55], v[58:59] op_sel_hi:[0,1]
	v_pk_fma_f32 v[84:85], v[42:43], v[60:61], v[58:59] neg_lo:[0,0,1] neg_hi:[0,0,1]
	v_pk_fma_f32 v[58:59], v[44:45], v[60:61], v[58:59] op_sel_hi:[0,1,1]
	v_mov_b32_e32 v85, v59
	v_pk_add_f32 v[58:59], v[82:83], v[78:79] neg_lo:[0,1] neg_hi:[0,1]
	v_pk_add_f32 v[60:61], v[84:85], v[80:81] neg_lo:[0,1] neg_hi:[0,1]
	;; [unrolled: 1-line block ×3, first 2 shown]
	v_pk_add_f32 v[86:87], v[58:59], v[60:61]
	v_pk_add_f32 v[58:59], v[78:79], v[80:81]
	v_pk_add_f32 v[90:91], v[78:79], v[80:81] neg_lo:[0,1] neg_hi:[0,1]
	s_waitcnt lgkmcnt(0)
	v_pk_fma_f32 v[58:59], v[58:59], 0.5, v[50:51] op_sel_hi:[1,0,1] neg_lo:[1,0,0] neg_hi:[1,0,0]
	v_add_u32_e32 v1, 39, v98
	v_pk_fma_f32 v[60:61], v[88:89], s[2:3], v[58:59] op_sel:[1,0,0] op_sel_hi:[0,0,1] neg_lo:[1,0,0] neg_hi:[1,0,0]
	v_pk_fma_f32 v[58:59], v[88:89], s[2:3], v[58:59] op_sel:[1,0,0] op_sel_hi:[0,0,1]
	v_pk_fma_f32 v[92:93], v[90:91], s[4:5], v[58:59] op_sel:[1,0,0] op_sel_hi:[0,0,1]
	v_pk_fma_f32 v[94:95], v[90:91], s[4:5], v[60:61] op_sel:[1,0,0] op_sel_hi:[0,0,1] neg_lo:[1,0,0] neg_hi:[1,0,0]
	global_load_dwordx4 v[58:61], v[68:69], off offset:1472
	global_load_dwordx4 v[62:65], v[68:69], off offset:1456
	v_mov_b32_e32 v96, v94
	v_mov_b32_e32 v97, v93
	v_pk_fma_f32 v[68:69], v[86:87], s[0:1], v[96:97] op_sel_hi:[1,0,1]
	v_pk_add_f32 v[96:97], v[50:51], v[82:83]
	v_mov_b32_e32 v93, v95
	v_pk_add_f32 v[96:97], v[96:97], v[78:79]
	v_mul_hi_u32 v7, v1, s1
	v_pk_add_f32 v[96:97], v[96:97], v[80:81]
	v_sub_u32_e32 v11, v1, v7
	v_pk_add_f32 v[96:97], v[84:85], v[96:97]
	global_store_dwordx2 v[66:67], v[96:97], off
	v_pk_fma_f32 v[66:67], v[86:87], s[0:1], v[92:93] op_sel_hi:[1,0,1]
	global_store_dwordx2 v[70:71], v[66:67], off
	v_pk_add_f32 v[66:67], v[78:79], v[82:83] neg_lo:[0,1] neg_hi:[0,1]
	v_pk_add_f32 v[70:71], v[80:81], v[84:85] neg_lo:[0,1] neg_hi:[0,1]
	v_lshrrev_b32_e32 v11, 1, v11
	v_pk_add_f32 v[66:67], v[66:67], v[70:71]
	v_pk_add_f32 v[70:71], v[82:83], v[84:85]
	v_add_u32_e32 v7, v11, v7
	v_pk_fma_f32 v[50:51], v[70:71], 0.5, v[50:51] op_sel_hi:[1,0,1] neg_lo:[1,0,0] neg_hi:[1,0,0]
	v_lshrrev_b32_e32 v7, 7, v7
	v_pk_fma_f32 v[70:71], v[90:91], s[2:3], v[50:51] op_sel:[1,0,0] op_sel_hi:[0,0,1]
	v_pk_fma_f32 v[50:51], v[90:91], s[2:3], v[50:51] op_sel:[1,0,0] op_sel_hi:[0,0,1] neg_lo:[1,0,0] neg_hi:[1,0,0]
	v_pk_fma_f32 v[50:51], v[88:89], s[4:5], v[50:51] op_sel:[1,0,0] op_sel_hi:[0,0,1]
	v_pk_fma_f32 v[70:71], v[88:89], s[4:5], v[70:71] op_sel:[1,0,0] op_sel_hi:[0,0,1] neg_lo:[1,0,0] neg_hi:[1,0,0]
	v_mov_b32_e32 v79, v51
	v_mov_b32_e32 v51, v71
	v_mul_lo_u32 v11, v7, s3
	v_mov_b32_e32 v78, v70
	v_pk_fma_f32 v[50:51], v[66:67], s[0:1], v[50:51] op_sel_hi:[1,0,1]
	v_sub_u32_e32 v42, v1, v11
	s_movk_i32 s5, 0x3cf
	v_pk_fma_f32 v[78:79], v[66:67], s[0:1], v[78:79] op_sel_hi:[1,0,1]
	global_store_dwordx2 v[72:73], v[50:51], off
	global_store_dwordx2 v[74:75], v[78:79], off
	;; [unrolled: 1-line block ×3, first 2 shown]
	v_mad_u64_u32 v[50:51], s[6:7], v7, s5, v[42:43]
	v_mad_u64_u32 v[66:67], s[6:7], s16, v50, 0
	v_mov_b32_e32 v42, v67
	v_mad_u64_u32 v[68:69], s[6:7], s17, v50, v[42:43]
	v_add_u32_e32 v1, 0xc3, v50
	v_mov_b32_e32 v67, v68
	v_mad_u64_u32 v[68:69], s[6:7], s16, v1, 0
	v_mov_b32_e32 v42, v69
	v_mad_u64_u32 v[70:71], s[6:7], s17, v1, v[42:43]
	v_add_u32_e32 v1, 0x186, v50
	v_mov_b32_e32 v69, v70
	;; [unrolled: 5-line block ×3, first 2 shown]
	v_mad_u64_u32 v[72:73], s[6:7], s16, v1, 0
	v_mov_b32_e32 v42, v73
	v_mad_u64_u32 v[74:75], s[6:7], s17, v1, v[42:43]
	v_add_u32_e32 v1, 0x30c, v50
	v_mad_u64_u32 v[50:51], s[6:7], s16, v1, 0
	v_mov_b32_e32 v42, v51
	v_mov_b32_e32 v54, v57
	;; [unrolled: 1-line block ×3, first 2 shown]
	v_mad_u64_u32 v[74:75], s[6:7], s17, v1, v[42:43]
	v_mov_b32_e32 v42, v45
	v_mov_b32_e32 v44, v45
	;; [unrolled: 1-line block ×3, first 2 shown]
	v_lshl_add_u64 v[66:67], v[66:67], 3, v[2:3]
	v_add_u32_e32 v1, 0x4e, v98
	v_lshl_add_u64 v[68:69], v[68:69], 3, v[2:3]
	v_mul_hi_u32 v7, v1, s1
	v_sub_u32_e32 v11, v1, v7
	v_lshrrev_b32_e32 v11, 1, v11
	s_waitcnt vmcnt(5)
	v_pk_mul_f32 v[56:57], v[54:55], v[62:63] op_sel:[0,1] op_sel_hi:[0,0]
	v_pk_fma_f32 v[74:75], v[42:43], v[62:63], v[56:57] neg_lo:[0,0,1] neg_hi:[0,0,1]
	v_pk_fma_f32 v[44:45], v[44:45], v[62:63], v[56:57] op_sel_hi:[0,1,1]
	v_mov_b32_e32 v75, v45
	v_mov_b32_e32 v44, v61
	;; [unrolled: 1-line block ×3, first 2 shown]
	v_pk_mul_f32 v[44:45], v[46:47], v[44:45] op_sel_hi:[0,1]
	v_pk_fma_f32 v[62:63], v[30:31], v[60:61], v[44:45] neg_lo:[0,0,1] neg_hi:[0,0,1]
	v_pk_fma_f32 v[44:45], v[30:31], v[60:61], v[44:45] op_sel_hi:[0,1,1]
	v_mov_b32_e32 v63, v45
	v_mov_b32_e32 v44, v65
	;; [unrolled: 1-line block ×3, first 2 shown]
	v_pk_mul_f32 v[44:45], v[48:49], v[44:45] op_sel_hi:[0,1]
	v_mov_b32_e32 v42, v55
	v_pk_fma_f32 v[60:61], v[36:37], v[64:65], v[44:45] neg_lo:[0,0,1] neg_hi:[0,0,1]
	v_pk_fma_f32 v[44:45], v[36:37], v[64:65], v[44:45] op_sel_hi:[0,1,1]
	v_mov_b32_e32 v30, v43
	v_mov_b32_e32 v36, v43
	v_pk_mul_f32 v[42:43], v[42:43], v[58:59] op_sel:[0,1] op_sel_hi:[0,0]
	v_pk_fma_f32 v[64:65], v[30:31], v[58:59], v[42:43] neg_lo:[0,0,1] neg_hi:[0,0,1]
	v_pk_fma_f32 v[42:43], v[36:37], v[58:59], v[42:43] op_sel_hi:[0,1,1]
	v_mov_b32_e32 v61, v45
	v_mov_b32_e32 v65, v43
	v_pk_add_f32 v[42:43], v[60:61], v[64:65]
	v_mov_b32_e32 v58, v28
	v_mov_b32_e32 v59, v38
	v_pk_fma_f32 v[42:43], v[42:43], 0.5, v[58:59] op_sel_hi:[1,0,1] neg_lo:[1,0,0] neg_hi:[1,0,0]
	v_pk_add_f32 v[76:77], v[74:75], v[62:63] neg_lo:[0,1] neg_hi:[0,1]
	v_pk_add_f32 v[44:45], v[74:75], v[60:61] neg_lo:[0,1] neg_hi:[0,1]
	;; [unrolled: 1-line block ×4, first 2 shown]
	v_pk_add_f32 v[80:81], v[44:45], v[54:55]
	v_pk_fma_f32 v[44:45], v[76:77], s[2:3], v[42:43] op_sel:[1,0,0] op_sel_hi:[0,0,1] neg_lo:[1,0,0] neg_hi:[1,0,0]
	v_pk_fma_f32 v[42:43], v[76:77], s[2:3], v[42:43] op_sel:[1,0,0] op_sel_hi:[0,0,1]
	v_pk_fma_f32 v[82:83], v[78:79], s[4:5], v[42:43] op_sel:[1,0,0] op_sel_hi:[0,0,1]
	v_pk_fma_f32 v[84:85], v[78:79], s[4:5], v[44:45] op_sel:[1,0,0] op_sel_hi:[0,0,1] neg_lo:[1,0,0] neg_hi:[1,0,0]
	global_load_dwordx4 v[42:45], v[52:53], off offset:1472
	global_load_dwordx4 v[54:57], v[52:53], off offset:1456
	v_mov_b32_e32 v86, v84
	v_mov_b32_e32 v87, v83
	v_pk_fma_f32 v[52:53], v[80:81], s[0:1], v[86:87] op_sel_hi:[1,0,1]
	v_pk_add_f32 v[86:87], v[58:59], v[74:75]
	v_mov_b32_e32 v83, v85
	v_pk_add_f32 v[86:87], v[86:87], v[60:61]
	v_pk_add_f32 v[60:61], v[60:61], v[74:75] neg_lo:[0,1] neg_hi:[0,1]
	v_pk_add_f32 v[86:87], v[86:87], v[64:65]
	v_add_u32_e32 v7, v11, v7
	v_pk_add_f32 v[86:87], v[62:63], v[86:87]
	global_store_dwordx2 v[66:67], v[86:87], off
	v_pk_fma_f32 v[66:67], v[80:81], s[0:1], v[82:83] op_sel_hi:[1,0,1]
	global_store_dwordx2 v[68:69], v[66:67], off
	v_pk_add_f32 v[66:67], v[74:75], v[62:63]
	v_pk_add_f32 v[62:63], v[64:65], v[62:63] neg_lo:[0,1] neg_hi:[0,1]
	v_pk_fma_f32 v[58:59], v[66:67], 0.5, v[58:59] op_sel_hi:[1,0,1] neg_lo:[1,0,0] neg_hi:[1,0,0]
	v_pk_add_f32 v[60:61], v[60:61], v[62:63]
	v_pk_fma_f32 v[62:63], v[78:79], s[2:3], v[58:59] op_sel:[1,0,0] op_sel_hi:[0,0,1]
	v_pk_fma_f32 v[58:59], v[78:79], s[2:3], v[58:59] op_sel:[1,0,0] op_sel_hi:[0,0,1] neg_lo:[1,0,0] neg_hi:[1,0,0]
	v_pk_fma_f32 v[58:59], v[76:77], s[4:5], v[58:59] op_sel:[1,0,0] op_sel_hi:[0,0,1]
	v_pk_fma_f32 v[62:63], v[76:77], s[4:5], v[62:63] op_sel:[1,0,0] op_sel_hi:[0,0,1] neg_lo:[1,0,0] neg_hi:[1,0,0]
	v_lshrrev_b32_e32 v7, 7, v7
	v_mov_b32_e32 v65, v59
	v_mov_b32_e32 v59, v63
	v_mul_lo_u32 v11, v7, s3
	v_lshl_add_u64 v[70:71], v[70:71], 3, v[2:3]
	v_lshl_add_u64 v[50:51], v[50:51], 3, v[2:3]
	v_mov_b32_e32 v64, v62
	v_pk_fma_f32 v[58:59], v[60:61], s[0:1], v[58:59] op_sel_hi:[1,0,1]
	v_sub_u32_e32 v28, v1, v11
	v_lshl_add_u64 v[72:73], v[72:73], 3, v[2:3]
	v_pk_fma_f32 v[64:65], v[60:61], s[0:1], v[64:65] op_sel_hi:[1,0,1]
	global_store_dwordx2 v[70:71], v[58:59], off
	global_store_dwordx2 v[72:73], v[64:65], off
	;; [unrolled: 1-line block ×3, first 2 shown]
	v_mad_u64_u32 v[50:51], s[6:7], v7, s5, v[28:29]
	v_mad_u64_u32 v[52:53], s[6:7], s16, v50, 0
	v_mov_b32_e32 v28, v53
	v_mad_u64_u32 v[58:59], s[6:7], s17, v50, v[28:29]
	v_add_u32_e32 v1, 0xc3, v50
	v_mov_b32_e32 v53, v58
	v_mad_u64_u32 v[58:59], s[6:7], s16, v1, 0
	v_mov_b32_e32 v28, v59
	v_mad_u64_u32 v[60:61], s[6:7], s17, v1, v[28:29]
	v_add_u32_e32 v1, 0x186, v50
	v_mov_b32_e32 v59, v60
	;; [unrolled: 5-line block ×3, first 2 shown]
	v_mad_u64_u32 v[62:63], s[6:7], s16, v1, 0
	v_mov_b32_e32 v28, v63
	v_mad_u64_u32 v[64:65], s[6:7], s17, v1, v[28:29]
	v_add_u32_e32 v1, 0x30c, v50
	v_mad_u64_u32 v[50:51], s[6:7], s16, v1, 0
	v_mov_b32_e32 v28, v51
	v_mov_b32_e32 v36, v49
	v_mov_b32_e32 v63, v64
	v_mad_u64_u32 v[64:65], s[6:7], s17, v1, v[28:29]
	v_mov_b32_e32 v28, v37
	v_mov_b32_e32 v30, v37
	;; [unrolled: 1-line block ×4, first 2 shown]
	v_add_u32_e32 v1, 0x75, v98
	v_mul_hi_u32 v7, v1, s1
	v_sub_u32_e32 v11, v1, v7
	v_lshrrev_b32_e32 v11, 1, v11
	v_lshl_add_u64 v[52:53], v[52:53], 3, v[2:3]
	v_lshl_add_u64 v[58:59], v[58:59], 3, v[2:3]
	s_waitcnt vmcnt(5)
	v_mov_b32_e32 v48, v57
	v_mov_b32_e32 v49, v56
	v_pk_mul_f32 v[36:37], v[36:37], v[48:49] op_sel_hi:[0,1]
	v_pk_fma_f32 v[48:49], v[28:29], v[56:57], v[36:37] neg_lo:[0,0,1] neg_hi:[0,0,1]
	v_pk_fma_f32 v[36:37], v[30:31], v[56:57], v[36:37] op_sel_hi:[0,1,1]
	v_mov_b32_e32 v49, v37
	v_pk_mul_f32 v[36:37], v[34:35], v[42:43] op_sel:[0,1] op_sel_hi:[0,0]
	v_pk_fma_f32 v[56:57], v[24:25], v[42:43], v[36:37] neg_lo:[0,0,1] neg_hi:[0,0,1]
	v_pk_fma_f32 v[36:37], v[24:25], v[42:43], v[36:37] op_sel_hi:[0,1,1]
	v_mov_b32_e32 v57, v37
	v_pk_mul_f32 v[36:37], v[32:33], v[54:55] op_sel:[0,1] op_sel_hi:[0,0]
	v_pk_fma_f32 v[64:65], v[20:21], v[54:55], v[36:37] neg_lo:[0,0,1] neg_hi:[0,0,1]
	v_pk_fma_f32 v[36:37], v[20:21], v[54:55], v[36:37] op_sel_hi:[0,1,1]
	v_mov_b32_e32 v20, v31
	v_mov_b32_e32 v24, v31
	;; [unrolled: 1-line block ×5, first 2 shown]
	v_pk_mul_f32 v[30:31], v[28:29], v[30:31] op_sel_hi:[0,1]
	v_mov_b32_e32 v65, v37
	v_pk_fma_f32 v[36:37], v[20:21], v[44:45], v[30:31] neg_lo:[0,0,1] neg_hi:[0,0,1]
	v_pk_fma_f32 v[30:31], v[24:25], v[44:45], v[30:31] op_sel_hi:[0,1,1]
	v_mov_b32_e32 v37, v31
	v_pk_add_f32 v[30:31], v[64:65], v[48:49] neg_lo:[0,1] neg_hi:[0,1]
	v_pk_add_f32 v[42:43], v[36:37], v[56:57] neg_lo:[0,1] neg_hi:[0,1]
	;; [unrolled: 1-line block ×3, first 2 shown]
	v_pk_add_f32 v[46:47], v[30:31], v[42:43]
	v_pk_add_f32 v[30:31], v[48:49], v[56:57]
	v_pk_add_f32 v[70:71], v[48:49], v[56:57] neg_lo:[0,1] neg_hi:[0,1]
	v_pk_fma_f32 v[28:29], v[30:31], 0.5, v[38:39] op_sel_hi:[1,0,1] neg_lo:[1,0,0] neg_hi:[1,0,0]
	v_pk_add_f32 v[72:73], v[38:39], v[64:65]
	v_pk_fma_f32 v[66:67], v[54:55], s[2:3], v[28:29] op_sel:[1,0,0] op_sel_hi:[0,0,1] neg_lo:[1,0,0] neg_hi:[1,0,0]
	v_pk_fma_f32 v[68:69], v[54:55], s[2:3], v[28:29] op_sel:[1,0,0] op_sel_hi:[0,0,1]
	global_load_dwordx4 v[28:31], v[40:41], off offset:1472
	global_load_dwordx4 v[42:45], v[40:41], off offset:1456
	v_pk_fma_f32 v[40:41], v[70:71], s[4:5], v[68:69] op_sel:[1,0,0] op_sel_hi:[0,0,1]
	v_pk_fma_f32 v[66:67], v[70:71], s[4:5], v[66:67] op_sel:[1,0,0] op_sel_hi:[0,0,1] neg_lo:[1,0,0] neg_hi:[1,0,0]
	v_pk_add_f32 v[72:73], v[72:73], v[48:49]
	v_mov_b32_e32 v68, v66
	v_mov_b32_e32 v69, v41
	v_pk_add_f32 v[72:73], v[72:73], v[56:57]
	v_mov_b32_e32 v41, v67
	v_pk_fma_f32 v[68:69], v[46:47], s[0:1], v[68:69] op_sel_hi:[1,0,1]
	v_pk_add_f32 v[72:73], v[36:37], v[72:73]
	v_pk_fma_f32 v[40:41], v[46:47], s[0:1], v[40:41] op_sel_hi:[1,0,1]
	v_pk_add_f32 v[46:47], v[56:57], v[36:37] neg_lo:[0,1] neg_hi:[0,1]
	v_pk_add_f32 v[36:37], v[64:65], v[36:37]
	v_add_u32_e32 v7, v11, v7
	v_pk_fma_f32 v[36:37], v[36:37], 0.5, v[38:39] op_sel_hi:[1,0,1] neg_lo:[1,0,0] neg_hi:[1,0,0]
	global_store_dwordx2 v[52:53], v[72:73], off
	v_pk_fma_f32 v[38:39], v[70:71], s[2:3], v[36:37] op_sel:[1,0,0] op_sel_hi:[0,0,1]
	v_pk_fma_f32 v[36:37], v[70:71], s[2:3], v[36:37] op_sel:[1,0,0] op_sel_hi:[0,0,1] neg_lo:[1,0,0] neg_hi:[1,0,0]
	global_store_dwordx2 v[58:59], v[40:41], off
	v_pk_add_f32 v[40:41], v[48:49], v[64:65] neg_lo:[0,1] neg_hi:[0,1]
	v_pk_fma_f32 v[36:37], v[54:55], s[4:5], v[36:37] op_sel:[1,0,0] op_sel_hi:[0,0,1]
	v_pk_fma_f32 v[38:39], v[54:55], s[4:5], v[38:39] op_sel:[1,0,0] op_sel_hi:[0,0,1] neg_lo:[1,0,0] neg_hi:[1,0,0]
	v_lshrrev_b32_e32 v7, 7, v7
	v_pk_add_f32 v[40:41], v[40:41], v[46:47]
	v_mov_b32_e32 v47, v37
	v_mov_b32_e32 v37, v39
	v_mul_lo_u32 v11, v7, s3
	v_lshl_add_u64 v[60:61], v[60:61], 3, v[2:3]
	v_mov_b32_e32 v46, v38
	v_pk_fma_f32 v[36:37], v[40:41], s[0:1], v[36:37] op_sel_hi:[1,0,1]
	v_sub_u32_e32 v20, v1, v11
	v_lshl_add_u64 v[62:63], v[62:63], 3, v[2:3]
	v_lshl_add_u64 v[50:51], v[50:51], 3, v[2:3]
	v_pk_fma_f32 v[46:47], v[40:41], s[0:1], v[46:47] op_sel_hi:[1,0,1]
	global_store_dwordx2 v[60:61], v[36:37], off
	global_store_dwordx2 v[62:63], v[46:47], off
	;; [unrolled: 1-line block ×3, first 2 shown]
	v_mad_u64_u32 v[36:37], s[6:7], v7, s5, v[20:21]
	v_mad_u64_u32 v[38:39], s[6:7], s16, v36, 0
	v_mov_b32_e32 v20, v39
	v_mad_u64_u32 v[40:41], s[6:7], s17, v36, v[20:21]
	v_add_u32_e32 v1, 0xc3, v36
	v_mov_b32_e32 v39, v40
	v_mad_u64_u32 v[40:41], s[6:7], s16, v1, 0
	v_mov_b32_e32 v20, v41
	v_mad_u64_u32 v[46:47], s[6:7], s17, v1, v[20:21]
	v_add_u32_e32 v1, 0x186, v36
	v_mov_b32_e32 v41, v46
	;; [unrolled: 5-line block ×3, first 2 shown]
	v_mad_u64_u32 v[48:49], s[6:7], s16, v1, 0
	v_mov_b32_e32 v20, v49
	v_mad_u64_u32 v[50:51], s[6:7], s17, v1, v[20:21]
	v_add_u32_e32 v1, 0x30c, v36
	v_mad_u64_u32 v[36:37], s[6:7], s16, v1, 0
	v_mov_b32_e32 v20, v37
	v_mov_b32_e32 v49, v50
	v_mad_u64_u32 v[50:51], s[6:7], s17, v1, v[20:21]
	v_mov_b32_e32 v37, v50
	v_mov_b32_e32 v20, v35
	v_add_u32_e32 v1, 0x9c, v98
	v_lshl_add_u64 v[38:39], v[38:39], 3, v[2:3]
	v_lshl_add_u64 v[40:41], v[40:41], 3, v[2:3]
	;; [unrolled: 1-line block ×5, first 2 shown]
	s_waitcnt vmcnt(5)
	v_mov_b32_e32 v50, v45
	v_mov_b32_e32 v51, v44
	v_pk_mul_f32 v[50:51], v[18:19], v[50:51] op_sel_hi:[0,1]
	v_pk_fma_f32 v[52:53], v[14:15], v[44:45], v[50:51] neg_lo:[0,0,1] neg_hi:[0,0,1]
	v_pk_fma_f32 v[44:45], v[14:15], v[44:45], v[50:51] op_sel_hi:[0,1,1]
	v_mov_b32_e32 v14, v25
	v_mov_b32_e32 v18, v25
	v_pk_mul_f32 v[24:25], v[20:21], v[28:29] op_sel:[0,1] op_sel_hi:[0,0]
	v_mov_b32_e32 v20, v33
	v_mov_b32_e32 v53, v45
	v_pk_fma_f32 v[44:45], v[14:15], v[28:29], v[24:25] neg_lo:[0,0,1] neg_hi:[0,0,1]
	v_pk_fma_f32 v[24:25], v[18:19], v[28:29], v[24:25] op_sel_hi:[0,1,1]
	v_mov_b32_e32 v14, v21
	v_mov_b32_e32 v18, v21
	v_pk_mul_f32 v[20:21], v[20:21], v[42:43] op_sel:[0,1] op_sel_hi:[0,0]
	v_mov_b32_e32 v45, v25
	v_pk_fma_f32 v[24:25], v[14:15], v[42:43], v[20:21] neg_lo:[0,0,1] neg_hi:[0,0,1]
	v_pk_fma_f32 v[20:21], v[18:19], v[42:43], v[20:21] op_sel_hi:[0,1,1]
	v_mov_b32_e32 v25, v21
	v_mov_b32_e32 v20, v31
	;; [unrolled: 1-line block ×3, first 2 shown]
	v_pk_mul_f32 v[20:21], v[16:17], v[20:21] op_sel_hi:[0,1]
	v_pk_fma_f32 v[42:43], v[12:13], v[30:31], v[20:21] neg_lo:[0,0,1] neg_hi:[0,0,1]
	v_pk_fma_f32 v[20:21], v[12:13], v[30:31], v[20:21] op_sel_hi:[0,1,1]
	v_mov_b32_e32 v43, v21
	v_pk_add_f32 v[20:21], v[24:25], v[52:53] neg_lo:[0,1] neg_hi:[0,1]
	v_pk_add_f32 v[28:29], v[42:43], v[44:45] neg_lo:[0,1] neg_hi:[0,1]
	v_mov_b32_e32 v50, v8
	v_pk_add_f32 v[20:21], v[20:21], v[28:29]
	v_pk_add_f32 v[28:29], v[52:53], v[44:45]
	v_mov_b32_e32 v51, v4
	v_pk_fma_f32 v[28:29], v[28:29], 0.5, v[50:51] op_sel_hi:[1,0,1] neg_lo:[1,0,0] neg_hi:[1,0,0]
	v_pk_add_f32 v[54:55], v[24:25], v[42:43] neg_lo:[0,1] neg_hi:[0,1]
	v_pk_add_f32 v[60:61], v[52:53], v[44:45] neg_lo:[0,1] neg_hi:[0,1]
	v_pk_fma_f32 v[56:57], v[54:55], s[2:3], v[28:29] op_sel:[1,0,0] op_sel_hi:[0,0,1] neg_lo:[1,0,0] neg_hi:[1,0,0]
	v_pk_fma_f32 v[58:59], v[54:55], s[2:3], v[28:29] op_sel:[1,0,0] op_sel_hi:[0,0,1]
	global_load_dwordx4 v[28:31], v[26:27], off offset:1472
	global_load_dwordx4 v[32:35], v[26:27], off offset:1456
	v_pk_add_f32 v[62:63], v[50:51], v[24:25]
	v_pk_fma_f32 v[26:27], v[60:61], s[4:5], v[58:59] op_sel:[1,0,0] op_sel_hi:[0,0,1]
	v_pk_fma_f32 v[56:57], v[60:61], s[4:5], v[56:57] op_sel:[1,0,0] op_sel_hi:[0,0,1] neg_lo:[1,0,0] neg_hi:[1,0,0]
	v_pk_add_f32 v[62:63], v[62:63], v[52:53]
	v_mov_b32_e32 v58, v56
	v_mov_b32_e32 v59, v27
	v_pk_add_f32 v[62:63], v[62:63], v[44:45]
	v_mov_b32_e32 v27, v57
	v_pk_fma_f32 v[58:59], v[20:21], s[0:1], v[58:59] op_sel_hi:[1,0,1]
	v_pk_add_f32 v[62:63], v[42:43], v[62:63]
	v_pk_fma_f32 v[20:21], v[20:21], s[0:1], v[26:27] op_sel_hi:[1,0,1]
	v_mul_hi_u32 v4, v1, s1
	global_store_dwordx2 v[38:39], v[62:63], off
	global_store_dwordx2 v[40:41], v[20:21], off
	v_pk_add_f32 v[20:21], v[52:53], v[24:25] neg_lo:[0,1] neg_hi:[0,1]
	v_pk_add_f32 v[24:25], v[24:25], v[42:43]
	v_sub_u32_e32 v7, v1, v4
	v_pk_add_f32 v[26:27], v[44:45], v[42:43] neg_lo:[0,1] neg_hi:[0,1]
	v_pk_fma_f32 v[24:25], v[24:25], 0.5, v[50:51] op_sel_hi:[1,0,1] neg_lo:[1,0,0] neg_hi:[1,0,0]
	v_lshrrev_b32_e32 v7, 1, v7
	v_pk_add_f32 v[20:21], v[20:21], v[26:27]
	v_pk_fma_f32 v[26:27], v[60:61], s[2:3], v[24:25] op_sel:[1,0,0] op_sel_hi:[0,0,1]
	v_pk_fma_f32 v[24:25], v[60:61], s[2:3], v[24:25] op_sel:[1,0,0] op_sel_hi:[0,0,1] neg_lo:[1,0,0] neg_hi:[1,0,0]
	v_add_u32_e32 v4, v7, v4
	v_pk_fma_f32 v[24:25], v[54:55], s[4:5], v[24:25] op_sel:[1,0,0] op_sel_hi:[0,0,1]
	v_pk_fma_f32 v[26:27], v[54:55], s[4:5], v[26:27] op_sel:[1,0,0] op_sel_hi:[0,0,1] neg_lo:[1,0,0] neg_hi:[1,0,0]
	v_lshrrev_b32_e32 v7, 7, v4
	v_mov_b32_e32 v38, v26
	v_mov_b32_e32 v39, v25
	;; [unrolled: 1-line block ×3, first 2 shown]
	v_mul_lo_u32 v4, v7, s3
	v_pk_fma_f32 v[38:39], v[20:21], s[0:1], v[38:39] op_sel_hi:[1,0,1]
	v_pk_fma_f32 v[20:21], v[20:21], s[0:1], v[24:25] op_sel_hi:[1,0,1]
	v_sub_u32_e32 v4, v1, v4
	global_store_dwordx2 v[46:47], v[20:21], off
	global_store_dwordx2 v[48:49], v[38:39], off
	;; [unrolled: 1-line block ×3, first 2 shown]
	v_mad_u64_u32 v[20:21], s[6:7], v7, s5, v[4:5]
	v_mad_u64_u32 v[24:25], s[6:7], s16, v20, 0
	v_mov_b32_e32 v4, v25
	v_mad_u64_u32 v[26:27], s[6:7], s17, v20, v[4:5]
	v_add_u32_e32 v1, 0xc3, v20
	v_mov_b32_e32 v25, v26
	v_mad_u64_u32 v[26:27], s[6:7], s16, v1, 0
	v_mov_b32_e32 v4, v27
	v_mad_u64_u32 v[36:37], s[6:7], s17, v1, v[4:5]
	v_add_u32_e32 v1, 0x186, v20
	v_mov_b32_e32 v27, v36
	;; [unrolled: 5-line block ×3, first 2 shown]
	v_mad_u64_u32 v[38:39], s[6:7], s16, v1, 0
	v_mov_b32_e32 v4, v39
	v_mad_u64_u32 v[40:41], s[6:7], s17, v1, v[4:5]
	v_add_u32_e32 v1, 0x30c, v20
	v_mad_u64_u32 v[20:21], s[6:7], s16, v1, 0
	v_mov_b32_e32 v4, v21
	v_mov_b32_e32 v39, v40
	v_mad_u64_u32 v[40:41], s[6:7], s17, v1, v[4:5]
	v_mov_b32_e32 v21, v40
	v_lshl_add_u64 v[24:25], v[24:25], 3, v[2:3]
	v_lshl_add_u64 v[26:27], v[26:27], 3, v[2:3]
	;; [unrolled: 1-line block ×5, first 2 shown]
	v_mov_b32_e32 v4, v15
	v_mov_b32_e32 v8, v15
	s_waitcnt vmcnt(6)
	v_mov_b32_e32 v12, v31
	s_waitcnt vmcnt(5)
	v_pk_mul_f32 v[20:21], v[22:23], v[32:33] op_sel:[0,1] op_sel_hi:[0,0]
	v_pk_fma_f32 v[22:23], v[10:11], v[32:33], v[20:21] neg_lo:[0,0,1] neg_hi:[0,0,1]
	v_pk_fma_f32 v[10:11], v[10:11], v[32:33], v[20:21] op_sel_hi:[0,1,1]
	v_mov_b32_e32 v10, v19
	v_mov_b32_e32 v14, v35
	;; [unrolled: 1-line block ×4, first 2 shown]
	v_pk_mul_f32 v[10:11], v[10:11], v[14:15] op_sel_hi:[0,1]
	v_pk_fma_f32 v[14:15], v[4:5], v[34:35], v[10:11] neg_lo:[0,0,1] neg_hi:[0,0,1]
	v_pk_fma_f32 v[10:11], v[8:9], v[34:35], v[10:11] op_sel_hi:[0,1,1]
	v_mov_b32_e32 v4, v13
	v_mov_b32_e32 v8, v13
	;; [unrolled: 1-line block ×5, first 2 shown]
	v_pk_mul_f32 v[10:11], v[10:11], v[12:13] op_sel_hi:[0,1]
	v_pk_fma_f32 v[12:13], v[4:5], v[30:31], v[10:11] neg_lo:[0,0,1] neg_hi:[0,0,1]
	v_pk_fma_f32 v[10:11], v[8:9], v[30:31], v[10:11] op_sel_hi:[0,1,1]
	v_pk_mul_f32 v[6:7], v[6:7], v[28:29] op_sel:[0,1] op_sel_hi:[0,0]
	v_mov_b32_e32 v13, v11
	v_pk_fma_f32 v[10:11], v[0:1], v[28:29], v[6:7] neg_lo:[0,0,1] neg_hi:[0,0,1]
	v_pk_fma_f32 v[0:1], v[0:1], v[28:29], v[6:7] op_sel_hi:[0,1,1]
	v_mov_b32_e32 v11, v1
	v_pk_add_f32 v[16:17], v[14:15], v[10:11]
	v_mov_b32_e32 v4, v9
	v_pk_add_f32 v[0:1], v[22:23], v[12:13] neg_lo:[0,1] neg_hi:[0,1]
	v_pk_fma_f32 v[8:9], v[16:17], 0.5, v[4:5] op_sel_hi:[1,0,1] neg_lo:[1,0,0] neg_hi:[1,0,0]
	v_pk_add_f32 v[16:17], v[22:23], v[14:15] neg_lo:[0,1] neg_hi:[0,1]
	v_pk_add_f32 v[18:19], v[12:13], v[10:11] neg_lo:[0,1] neg_hi:[0,1]
	;; [unrolled: 1-line block ×3, first 2 shown]
	v_pk_add_f32 v[16:17], v[16:17], v[18:19]
	v_pk_fma_f32 v[18:19], v[0:1], s[2:3], v[8:9] op_sel:[1,0,0] op_sel_hi:[0,0,1] neg_lo:[1,0,0] neg_hi:[1,0,0]
	v_pk_fma_f32 v[8:9], v[0:1], s[2:3], v[8:9] op_sel:[1,0,0] op_sel_hi:[0,0,1]
	v_pk_add_f32 v[28:29], v[4:5], v[22:23]
	v_pk_fma_f32 v[8:9], v[6:7], s[4:5], v[8:9] op_sel:[1,0,0] op_sel_hi:[0,0,1]
	v_pk_fma_f32 v[18:19], v[6:7], s[4:5], v[18:19] op_sel:[1,0,0] op_sel_hi:[0,0,1] neg_lo:[1,0,0] neg_hi:[1,0,0]
	v_pk_add_f32 v[28:29], v[14:15], v[28:29]
	v_mov_b32_e32 v21, v9
	v_pk_add_f32 v[28:29], v[28:29], v[10:11]
	v_mov_b32_e32 v9, v19
	v_pk_add_f32 v[28:29], v[28:29], v[12:13]
	v_pk_fma_f32 v[8:9], v[16:17], s[0:1], v[8:9] op_sel_hi:[1,0,1]
	global_store_dwordx2 v[24:25], v[28:29], off
	global_store_dwordx2 v[26:27], v[8:9], off
	v_pk_add_f32 v[8:9], v[22:23], v[12:13]
	v_pk_add_f32 v[10:11], v[10:11], v[12:13] neg_lo:[0,1] neg_hi:[0,1]
	v_pk_fma_f32 v[4:5], v[8:9], 0.5, v[4:5] op_sel_hi:[1,0,1] neg_lo:[1,0,0] neg_hi:[1,0,0]
	v_pk_add_f32 v[8:9], v[14:15], v[22:23] neg_lo:[0,1] neg_hi:[0,1]
	v_mov_b32_e32 v20, v18
	v_pk_add_f32 v[8:9], v[8:9], v[10:11]
	v_pk_fma_f32 v[10:11], v[6:7], s[2:3], v[4:5] op_sel:[1,0,0] op_sel_hi:[0,0,1]
	v_pk_fma_f32 v[4:5], v[6:7], s[2:3], v[4:5] op_sel:[1,0,0] op_sel_hi:[0,0,1] neg_lo:[1,0,0] neg_hi:[1,0,0]
	v_pk_fma_f32 v[4:5], v[0:1], s[4:5], v[4:5] op_sel:[1,0,0] op_sel_hi:[0,0,1]
	v_pk_fma_f32 v[0:1], v[0:1], s[4:5], v[10:11] op_sel:[1,0,0] op_sel_hi:[0,0,1] neg_lo:[1,0,0] neg_hi:[1,0,0]
	v_mov_b32_e32 v7, v5
	v_mov_b32_e32 v5, v1
	;; [unrolled: 1-line block ×3, first 2 shown]
	v_pk_fma_f32 v[0:1], v[8:9], s[0:1], v[4:5] op_sel_hi:[1,0,1]
	v_pk_fma_f32 v[20:21], v[16:17], s[0:1], v[20:21] op_sel_hi:[1,0,1]
	;; [unrolled: 1-line block ×3, first 2 shown]
	global_store_dwordx2 v[36:37], v[0:1], off
	global_store_dwordx2 v[38:39], v[6:7], off
	global_store_dwordx2 v[2:3], v[20:21], off
.LBB0_28:
	s_endpgm
	.section	.rodata,"a",@progbits
	.p2align	6, 0x0
	.amdhsa_kernel fft_rtc_fwd_len975_factors_13_5_3_5_wgs_117_tpt_39_halfLds_sp_op_CI_CI_sbrr_dirReg
		.amdhsa_group_segment_fixed_size 0
		.amdhsa_private_segment_fixed_size 0
		.amdhsa_kernarg_size 104
		.amdhsa_user_sgpr_count 2
		.amdhsa_user_sgpr_dispatch_ptr 0
		.amdhsa_user_sgpr_queue_ptr 0
		.amdhsa_user_sgpr_kernarg_segment_ptr 1
		.amdhsa_user_sgpr_dispatch_id 0
		.amdhsa_user_sgpr_kernarg_preload_length 0
		.amdhsa_user_sgpr_kernarg_preload_offset 0
		.amdhsa_user_sgpr_private_segment_size 0
		.amdhsa_uses_dynamic_stack 0
		.amdhsa_enable_private_segment 0
		.amdhsa_system_sgpr_workgroup_id_x 1
		.amdhsa_system_sgpr_workgroup_id_y 0
		.amdhsa_system_sgpr_workgroup_id_z 0
		.amdhsa_system_sgpr_workgroup_info 0
		.amdhsa_system_vgpr_workitem_id 0
		.amdhsa_next_free_vgpr 152
		.amdhsa_next_free_sgpr 72
		.amdhsa_accum_offset 152
		.amdhsa_reserve_vcc 1
		.amdhsa_float_round_mode_32 0
		.amdhsa_float_round_mode_16_64 0
		.amdhsa_float_denorm_mode_32 3
		.amdhsa_float_denorm_mode_16_64 3
		.amdhsa_dx10_clamp 1
		.amdhsa_ieee_mode 1
		.amdhsa_fp16_overflow 0
		.amdhsa_tg_split 0
		.amdhsa_exception_fp_ieee_invalid_op 0
		.amdhsa_exception_fp_denorm_src 0
		.amdhsa_exception_fp_ieee_div_zero 0
		.amdhsa_exception_fp_ieee_overflow 0
		.amdhsa_exception_fp_ieee_underflow 0
		.amdhsa_exception_fp_ieee_inexact 0
		.amdhsa_exception_int_div_zero 0
	.end_amdhsa_kernel
	.text
.Lfunc_end0:
	.size	fft_rtc_fwd_len975_factors_13_5_3_5_wgs_117_tpt_39_halfLds_sp_op_CI_CI_sbrr_dirReg, .Lfunc_end0-fft_rtc_fwd_len975_factors_13_5_3_5_wgs_117_tpt_39_halfLds_sp_op_CI_CI_sbrr_dirReg
                                        ; -- End function
	.section	.AMDGPU.csdata,"",@progbits
; Kernel info:
; codeLenInByte = 17580
; NumSgprs: 78
; NumVgprs: 152
; NumAgprs: 0
; TotalNumVgprs: 152
; ScratchSize: 0
; MemoryBound: 0
; FloatMode: 240
; IeeeMode: 1
; LDSByteSize: 0 bytes/workgroup (compile time only)
; SGPRBlocks: 9
; VGPRBlocks: 18
; NumSGPRsForWavesPerEU: 78
; NumVGPRsForWavesPerEU: 152
; AccumOffset: 152
; Occupancy: 3
; WaveLimiterHint : 1
; COMPUTE_PGM_RSRC2:SCRATCH_EN: 0
; COMPUTE_PGM_RSRC2:USER_SGPR: 2
; COMPUTE_PGM_RSRC2:TRAP_HANDLER: 0
; COMPUTE_PGM_RSRC2:TGID_X_EN: 1
; COMPUTE_PGM_RSRC2:TGID_Y_EN: 0
; COMPUTE_PGM_RSRC2:TGID_Z_EN: 0
; COMPUTE_PGM_RSRC2:TIDIG_COMP_CNT: 0
; COMPUTE_PGM_RSRC3_GFX90A:ACCUM_OFFSET: 37
; COMPUTE_PGM_RSRC3_GFX90A:TG_SPLIT: 0
	.text
	.p2alignl 6, 3212836864
	.fill 256, 4, 3212836864
	.type	__hip_cuid_d3c57eee0c1685a6,@object ; @__hip_cuid_d3c57eee0c1685a6
	.section	.bss,"aw",@nobits
	.globl	__hip_cuid_d3c57eee0c1685a6
__hip_cuid_d3c57eee0c1685a6:
	.byte	0                               ; 0x0
	.size	__hip_cuid_d3c57eee0c1685a6, 1

	.ident	"AMD clang version 19.0.0git (https://github.com/RadeonOpenCompute/llvm-project roc-6.4.0 25133 c7fe45cf4b819c5991fe208aaa96edf142730f1d)"
	.section	".note.GNU-stack","",@progbits
	.addrsig
	.addrsig_sym __hip_cuid_d3c57eee0c1685a6
	.amdgpu_metadata
---
amdhsa.kernels:
  - .agpr_count:     0
    .args:
      - .actual_access:  read_only
        .address_space:  global
        .offset:         0
        .size:           8
        .value_kind:     global_buffer
      - .offset:         8
        .size:           8
        .value_kind:     by_value
      - .actual_access:  read_only
        .address_space:  global
        .offset:         16
        .size:           8
        .value_kind:     global_buffer
      - .actual_access:  read_only
        .address_space:  global
        .offset:         24
        .size:           8
        .value_kind:     global_buffer
      - .actual_access:  read_only
        .address_space:  global
        .offset:         32
        .size:           8
        .value_kind:     global_buffer
      - .offset:         40
        .size:           8
        .value_kind:     by_value
      - .actual_access:  read_only
        .address_space:  global
        .offset:         48
        .size:           8
        .value_kind:     global_buffer
      - .actual_access:  read_only
        .address_space:  global
        .offset:         56
        .size:           8
        .value_kind:     global_buffer
      - .offset:         64
        .size:           4
        .value_kind:     by_value
      - .actual_access:  read_only
        .address_space:  global
        .offset:         72
        .size:           8
        .value_kind:     global_buffer
      - .actual_access:  read_only
        .address_space:  global
        .offset:         80
        .size:           8
        .value_kind:     global_buffer
      - .actual_access:  read_only
        .address_space:  global
        .offset:         88
        .size:           8
        .value_kind:     global_buffer
      - .actual_access:  write_only
        .address_space:  global
        .offset:         96
        .size:           8
        .value_kind:     global_buffer
    .group_segment_fixed_size: 0
    .kernarg_segment_align: 8
    .kernarg_segment_size: 104
    .language:       OpenCL C
    .language_version:
      - 2
      - 0
    .max_flat_workgroup_size: 117
    .name:           fft_rtc_fwd_len975_factors_13_5_3_5_wgs_117_tpt_39_halfLds_sp_op_CI_CI_sbrr_dirReg
    .private_segment_fixed_size: 0
    .sgpr_count:     78
    .sgpr_spill_count: 0
    .symbol:         fft_rtc_fwd_len975_factors_13_5_3_5_wgs_117_tpt_39_halfLds_sp_op_CI_CI_sbrr_dirReg.kd
    .uniform_work_group_size: 1
    .uses_dynamic_stack: false
    .vgpr_count:     152
    .vgpr_spill_count: 0
    .wavefront_size: 64
amdhsa.target:   amdgcn-amd-amdhsa--gfx950
amdhsa.version:
  - 1
  - 2
...

	.end_amdgpu_metadata
